;; amdgpu-corpus repo=ROCm/rocFFT kind=compiled arch=gfx1100 opt=O3
	.text
	.amdgcn_target "amdgcn-amd-amdhsa--gfx1100"
	.amdhsa_code_object_version 6
	.protected	fft_rtc_fwd_len1430_factors_13_11_10_wgs_143_tpt_143_dp_op_CI_CI_unitstride_sbrr_C2R_dirReg ; -- Begin function fft_rtc_fwd_len1430_factors_13_11_10_wgs_143_tpt_143_dp_op_CI_CI_unitstride_sbrr_C2R_dirReg
	.globl	fft_rtc_fwd_len1430_factors_13_11_10_wgs_143_tpt_143_dp_op_CI_CI_unitstride_sbrr_C2R_dirReg
	.p2align	8
	.type	fft_rtc_fwd_len1430_factors_13_11_10_wgs_143_tpt_143_dp_op_CI_CI_unitstride_sbrr_C2R_dirReg,@function
fft_rtc_fwd_len1430_factors_13_11_10_wgs_143_tpt_143_dp_op_CI_CI_unitstride_sbrr_C2R_dirReg: ; @fft_rtc_fwd_len1430_factors_13_11_10_wgs_143_tpt_143_dp_op_CI_CI_unitstride_sbrr_C2R_dirReg
; %bb.0:
	s_clause 0x2
	s_load_b128 s[8:11], s[0:1], 0x0
	s_load_b128 s[4:7], s[0:1], 0x58
	;; [unrolled: 1-line block ×3, first 2 shown]
	v_mul_u32_u24_e32 v1, 0x1cb, v0
	v_mov_b32_e32 v3, 0
	s_delay_alu instid0(VALU_DEP_2) | instskip(NEXT) | instid1(VALU_DEP_1)
	v_lshrrev_b32_e32 v1, 16, v1
	v_add_nc_u32_e32 v5, s15, v1
	v_mov_b32_e32 v1, 0
	v_mov_b32_e32 v2, 0
	;; [unrolled: 1-line block ×3, first 2 shown]
	s_waitcnt lgkmcnt(0)
	v_cmp_lt_u64_e64 s2, s[10:11], 2
	s_delay_alu instid0(VALU_DEP_1)
	s_and_b32 vcc_lo, exec_lo, s2
	s_cbranch_vccnz .LBB0_8
; %bb.1:
	s_load_b64 s[2:3], s[0:1], 0x10
	v_mov_b32_e32 v1, 0
	v_mov_b32_e32 v2, 0
	s_add_u32 s12, s18, 8
	s_addc_u32 s13, s19, 0
	s_add_u32 s14, s16, 8
	s_addc_u32 s15, s17, 0
	v_dual_mov_b32 v81, v2 :: v_dual_mov_b32 v80, v1
	s_mov_b64 s[22:23], 1
	s_waitcnt lgkmcnt(0)
	s_add_u32 s20, s2, 8
	s_addc_u32 s21, s3, 0
.LBB0_2:                                ; =>This Inner Loop Header: Depth=1
	s_load_b64 s[24:25], s[20:21], 0x0
                                        ; implicit-def: $vgpr82_vgpr83
	s_mov_b32 s2, exec_lo
	s_waitcnt lgkmcnt(0)
	v_or_b32_e32 v4, s25, v6
	s_delay_alu instid0(VALU_DEP_1)
	v_cmpx_ne_u64_e32 0, v[3:4]
	s_xor_b32 s3, exec_lo, s2
	s_cbranch_execz .LBB0_4
; %bb.3:                                ;   in Loop: Header=BB0_2 Depth=1
	v_cvt_f32_u32_e32 v4, s24
	v_cvt_f32_u32_e32 v7, s25
	s_sub_u32 s2, 0, s24
	s_subb_u32 s26, 0, s25
	s_delay_alu instid0(VALU_DEP_1) | instskip(NEXT) | instid1(VALU_DEP_1)
	v_fmac_f32_e32 v4, 0x4f800000, v7
	v_rcp_f32_e32 v4, v4
	s_waitcnt_depctr 0xfff
	v_mul_f32_e32 v4, 0x5f7ffffc, v4
	s_delay_alu instid0(VALU_DEP_1) | instskip(NEXT) | instid1(VALU_DEP_1)
	v_mul_f32_e32 v7, 0x2f800000, v4
	v_trunc_f32_e32 v7, v7
	s_delay_alu instid0(VALU_DEP_1) | instskip(SKIP_1) | instid1(VALU_DEP_2)
	v_fmac_f32_e32 v4, 0xcf800000, v7
	v_cvt_u32_f32_e32 v7, v7
	v_cvt_u32_f32_e32 v4, v4
	s_delay_alu instid0(VALU_DEP_2) | instskip(NEXT) | instid1(VALU_DEP_2)
	v_mul_lo_u32 v8, s2, v7
	v_mul_hi_u32 v9, s2, v4
	v_mul_lo_u32 v10, s26, v4
	s_delay_alu instid0(VALU_DEP_2) | instskip(SKIP_1) | instid1(VALU_DEP_2)
	v_add_nc_u32_e32 v8, v9, v8
	v_mul_lo_u32 v9, s2, v4
	v_add_nc_u32_e32 v8, v8, v10
	s_delay_alu instid0(VALU_DEP_2) | instskip(NEXT) | instid1(VALU_DEP_2)
	v_mul_hi_u32 v10, v4, v9
	v_mul_lo_u32 v11, v4, v8
	v_mul_hi_u32 v12, v4, v8
	v_mul_hi_u32 v13, v7, v9
	v_mul_lo_u32 v9, v7, v9
	v_mul_hi_u32 v14, v7, v8
	v_mul_lo_u32 v8, v7, v8
	v_add_co_u32 v10, vcc_lo, v10, v11
	v_add_co_ci_u32_e32 v11, vcc_lo, 0, v12, vcc_lo
	s_delay_alu instid0(VALU_DEP_2) | instskip(NEXT) | instid1(VALU_DEP_2)
	v_add_co_u32 v9, vcc_lo, v10, v9
	v_add_co_ci_u32_e32 v9, vcc_lo, v11, v13, vcc_lo
	v_add_co_ci_u32_e32 v10, vcc_lo, 0, v14, vcc_lo
	s_delay_alu instid0(VALU_DEP_2) | instskip(NEXT) | instid1(VALU_DEP_2)
	v_add_co_u32 v8, vcc_lo, v9, v8
	v_add_co_ci_u32_e32 v9, vcc_lo, 0, v10, vcc_lo
	s_delay_alu instid0(VALU_DEP_2) | instskip(NEXT) | instid1(VALU_DEP_2)
	v_add_co_u32 v4, vcc_lo, v4, v8
	v_add_co_ci_u32_e32 v7, vcc_lo, v7, v9, vcc_lo
	s_delay_alu instid0(VALU_DEP_2) | instskip(SKIP_1) | instid1(VALU_DEP_3)
	v_mul_hi_u32 v8, s2, v4
	v_mul_lo_u32 v10, s26, v4
	v_mul_lo_u32 v9, s2, v7
	s_delay_alu instid0(VALU_DEP_1) | instskip(SKIP_1) | instid1(VALU_DEP_2)
	v_add_nc_u32_e32 v8, v8, v9
	v_mul_lo_u32 v9, s2, v4
	v_add_nc_u32_e32 v8, v8, v10
	s_delay_alu instid0(VALU_DEP_2) | instskip(NEXT) | instid1(VALU_DEP_2)
	v_mul_hi_u32 v10, v4, v9
	v_mul_lo_u32 v11, v4, v8
	v_mul_hi_u32 v12, v4, v8
	v_mul_hi_u32 v13, v7, v9
	v_mul_lo_u32 v9, v7, v9
	v_mul_hi_u32 v14, v7, v8
	v_mul_lo_u32 v8, v7, v8
	v_add_co_u32 v10, vcc_lo, v10, v11
	v_add_co_ci_u32_e32 v11, vcc_lo, 0, v12, vcc_lo
	s_delay_alu instid0(VALU_DEP_2) | instskip(NEXT) | instid1(VALU_DEP_2)
	v_add_co_u32 v9, vcc_lo, v10, v9
	v_add_co_ci_u32_e32 v9, vcc_lo, v11, v13, vcc_lo
	v_add_co_ci_u32_e32 v10, vcc_lo, 0, v14, vcc_lo
	s_delay_alu instid0(VALU_DEP_2) | instskip(NEXT) | instid1(VALU_DEP_2)
	v_add_co_u32 v8, vcc_lo, v9, v8
	v_add_co_ci_u32_e32 v9, vcc_lo, 0, v10, vcc_lo
	s_delay_alu instid0(VALU_DEP_2) | instskip(NEXT) | instid1(VALU_DEP_2)
	v_add_co_u32 v4, vcc_lo, v4, v8
	v_add_co_ci_u32_e32 v13, vcc_lo, v7, v9, vcc_lo
	s_delay_alu instid0(VALU_DEP_2) | instskip(SKIP_1) | instid1(VALU_DEP_3)
	v_mul_hi_u32 v14, v5, v4
	v_mad_u64_u32 v[9:10], null, v6, v4, 0
	v_mad_u64_u32 v[7:8], null, v5, v13, 0
	;; [unrolled: 1-line block ×3, first 2 shown]
	s_delay_alu instid0(VALU_DEP_2) | instskip(NEXT) | instid1(VALU_DEP_3)
	v_add_co_u32 v4, vcc_lo, v14, v7
	v_add_co_ci_u32_e32 v7, vcc_lo, 0, v8, vcc_lo
	s_delay_alu instid0(VALU_DEP_2) | instskip(NEXT) | instid1(VALU_DEP_2)
	v_add_co_u32 v4, vcc_lo, v4, v9
	v_add_co_ci_u32_e32 v4, vcc_lo, v7, v10, vcc_lo
	v_add_co_ci_u32_e32 v7, vcc_lo, 0, v12, vcc_lo
	s_delay_alu instid0(VALU_DEP_2) | instskip(NEXT) | instid1(VALU_DEP_2)
	v_add_co_u32 v4, vcc_lo, v4, v11
	v_add_co_ci_u32_e32 v9, vcc_lo, 0, v7, vcc_lo
	s_delay_alu instid0(VALU_DEP_2) | instskip(SKIP_1) | instid1(VALU_DEP_3)
	v_mul_lo_u32 v10, s25, v4
	v_mad_u64_u32 v[7:8], null, s24, v4, 0
	v_mul_lo_u32 v11, s24, v9
	s_delay_alu instid0(VALU_DEP_2) | instskip(NEXT) | instid1(VALU_DEP_2)
	v_sub_co_u32 v7, vcc_lo, v5, v7
	v_add3_u32 v8, v8, v11, v10
	s_delay_alu instid0(VALU_DEP_1) | instskip(NEXT) | instid1(VALU_DEP_1)
	v_sub_nc_u32_e32 v10, v6, v8
	v_subrev_co_ci_u32_e64 v10, s2, s25, v10, vcc_lo
	v_add_co_u32 v11, s2, v4, 2
	s_delay_alu instid0(VALU_DEP_1) | instskip(SKIP_3) | instid1(VALU_DEP_3)
	v_add_co_ci_u32_e64 v12, s2, 0, v9, s2
	v_sub_co_u32 v13, s2, v7, s24
	v_sub_co_ci_u32_e32 v8, vcc_lo, v6, v8, vcc_lo
	v_subrev_co_ci_u32_e64 v10, s2, 0, v10, s2
	v_cmp_le_u32_e32 vcc_lo, s24, v13
	s_delay_alu instid0(VALU_DEP_3) | instskip(SKIP_1) | instid1(VALU_DEP_4)
	v_cmp_eq_u32_e64 s2, s25, v8
	v_cndmask_b32_e64 v13, 0, -1, vcc_lo
	v_cmp_le_u32_e32 vcc_lo, s25, v10
	v_cndmask_b32_e64 v14, 0, -1, vcc_lo
	v_cmp_le_u32_e32 vcc_lo, s24, v7
	;; [unrolled: 2-line block ×3, first 2 shown]
	v_cndmask_b32_e64 v15, 0, -1, vcc_lo
	v_cmp_eq_u32_e32 vcc_lo, s25, v10
	s_delay_alu instid0(VALU_DEP_2) | instskip(SKIP_3) | instid1(VALU_DEP_3)
	v_cndmask_b32_e64 v7, v15, v7, s2
	v_cndmask_b32_e32 v10, v14, v13, vcc_lo
	v_add_co_u32 v13, vcc_lo, v4, 1
	v_add_co_ci_u32_e32 v14, vcc_lo, 0, v9, vcc_lo
	v_cmp_ne_u32_e32 vcc_lo, 0, v10
	s_delay_alu instid0(VALU_DEP_2) | instskip(NEXT) | instid1(VALU_DEP_4)
	v_cndmask_b32_e32 v8, v14, v12, vcc_lo
	v_cndmask_b32_e32 v10, v13, v11, vcc_lo
	v_cmp_ne_u32_e32 vcc_lo, 0, v7
	s_delay_alu instid0(VALU_DEP_2)
	v_dual_cndmask_b32 v83, v9, v8 :: v_dual_cndmask_b32 v82, v4, v10
.LBB0_4:                                ;   in Loop: Header=BB0_2 Depth=1
	s_and_not1_saveexec_b32 s2, s3
	s_cbranch_execz .LBB0_6
; %bb.5:                                ;   in Loop: Header=BB0_2 Depth=1
	v_cvt_f32_u32_e32 v4, s24
	s_sub_i32 s3, 0, s24
	v_mov_b32_e32 v83, v3
	s_delay_alu instid0(VALU_DEP_2) | instskip(SKIP_2) | instid1(VALU_DEP_1)
	v_rcp_iflag_f32_e32 v4, v4
	s_waitcnt_depctr 0xfff
	v_mul_f32_e32 v4, 0x4f7ffffe, v4
	v_cvt_u32_f32_e32 v4, v4
	s_delay_alu instid0(VALU_DEP_1) | instskip(NEXT) | instid1(VALU_DEP_1)
	v_mul_lo_u32 v7, s3, v4
	v_mul_hi_u32 v7, v4, v7
	s_delay_alu instid0(VALU_DEP_1) | instskip(NEXT) | instid1(VALU_DEP_1)
	v_add_nc_u32_e32 v4, v4, v7
	v_mul_hi_u32 v4, v5, v4
	s_delay_alu instid0(VALU_DEP_1) | instskip(SKIP_1) | instid1(VALU_DEP_2)
	v_mul_lo_u32 v7, v4, s24
	v_add_nc_u32_e32 v8, 1, v4
	v_sub_nc_u32_e32 v7, v5, v7
	s_delay_alu instid0(VALU_DEP_1) | instskip(SKIP_1) | instid1(VALU_DEP_2)
	v_subrev_nc_u32_e32 v9, s24, v7
	v_cmp_le_u32_e32 vcc_lo, s24, v7
	v_dual_cndmask_b32 v7, v7, v9 :: v_dual_cndmask_b32 v4, v4, v8
	s_delay_alu instid0(VALU_DEP_1) | instskip(NEXT) | instid1(VALU_DEP_2)
	v_cmp_le_u32_e32 vcc_lo, s24, v7
	v_add_nc_u32_e32 v8, 1, v4
	s_delay_alu instid0(VALU_DEP_1)
	v_cndmask_b32_e32 v82, v4, v8, vcc_lo
.LBB0_6:                                ;   in Loop: Header=BB0_2 Depth=1
	s_or_b32 exec_lo, exec_lo, s2
	s_delay_alu instid0(VALU_DEP_1) | instskip(NEXT) | instid1(VALU_DEP_2)
	v_mul_lo_u32 v4, v83, s24
	v_mul_lo_u32 v9, v82, s25
	s_load_b64 s[2:3], s[14:15], 0x0
	v_mad_u64_u32 v[7:8], null, v82, s24, 0
	s_load_b64 s[24:25], s[12:13], 0x0
	s_add_u32 s22, s22, 1
	s_addc_u32 s23, s23, 0
	s_add_u32 s12, s12, 8
	s_addc_u32 s13, s13, 0
	s_add_u32 s14, s14, 8
	s_delay_alu instid0(VALU_DEP_1) | instskip(SKIP_3) | instid1(VALU_DEP_2)
	v_add3_u32 v4, v8, v9, v4
	v_sub_co_u32 v8, vcc_lo, v5, v7
	s_addc_u32 s15, s15, 0
	s_add_u32 s20, s20, 8
	v_sub_co_ci_u32_e32 v6, vcc_lo, v6, v4, vcc_lo
	s_addc_u32 s21, s21, 0
	s_waitcnt lgkmcnt(0)
	s_delay_alu instid0(VALU_DEP_1)
	v_mul_lo_u32 v9, s2, v6
	v_mul_lo_u32 v10, s3, v8
	v_mad_u64_u32 v[4:5], null, s2, v8, v[1:2]
	v_mul_lo_u32 v11, s24, v6
	v_mul_lo_u32 v12, s25, v8
	v_mad_u64_u32 v[6:7], null, s24, v8, v[80:81]
	v_cmp_ge_u64_e64 s2, s[22:23], s[10:11]
	v_add3_u32 v2, v10, v5, v9
	s_delay_alu instid0(VALU_DEP_3) | instskip(NEXT) | instid1(VALU_DEP_4)
	v_dual_mov_b32 v1, v4 :: v_dual_mov_b32 v80, v6
	v_add3_u32 v81, v12, v7, v11
	s_delay_alu instid0(VALU_DEP_4)
	s_and_b32 vcc_lo, exec_lo, s2
	s_cbranch_vccnz .LBB0_9
; %bb.7:                                ;   in Loop: Header=BB0_2 Depth=1
	v_dual_mov_b32 v5, v82 :: v_dual_mov_b32 v6, v83
	s_branch .LBB0_2
.LBB0_8:
	v_dual_mov_b32 v81, v2 :: v_dual_mov_b32 v80, v1
	v_dual_mov_b32 v83, v6 :: v_dual_mov_b32 v82, v5
.LBB0_9:
	s_load_b64 s[0:1], s[0:1], 0x28
	v_mul_hi_u32 v3, 0x1ca4b31, v0
	s_lshl_b64 s[10:11], s[10:11], 3
                                        ; implicit-def: $vgpr84
	s_delay_alu instid0(SALU_CYCLE_1) | instskip(SKIP_4) | instid1(VALU_DEP_1)
	s_add_u32 s2, s18, s10
	s_addc_u32 s3, s19, s11
	s_waitcnt lgkmcnt(0)
	v_cmp_gt_u64_e32 vcc_lo, s[0:1], v[82:83]
	v_cmp_le_u64_e64 s0, s[0:1], v[82:83]
	s_and_saveexec_b32 s1, s0
	s_delay_alu instid0(SALU_CYCLE_1)
	s_xor_b32 s0, exec_lo, s1
; %bb.10:
	v_mul_u32_u24_e32 v1, 0x8f, v3
                                        ; implicit-def: $vgpr3
	s_delay_alu instid0(VALU_DEP_1)
	v_sub_nc_u32_e32 v84, v0, v1
                                        ; implicit-def: $vgpr0
                                        ; implicit-def: $vgpr1_vgpr2
; %bb.11:
	s_or_saveexec_b32 s1, s0
	s_load_b64 s[2:3], s[2:3], 0x0
	s_xor_b32 exec_lo, exec_lo, s1
	s_cbranch_execz .LBB0_15
; %bb.12:
	s_add_u32 s10, s16, s10
	s_addc_u32 s11, s17, s11
	v_lshlrev_b64 v[1:2], 4, v[1:2]
	s_load_b64 s[10:11], s[10:11], 0x0
	s_waitcnt lgkmcnt(0)
	v_mul_lo_u32 v6, s11, v82
	v_mul_lo_u32 v7, s10, v83
	v_mad_u64_u32 v[4:5], null, s10, v82, 0
	s_delay_alu instid0(VALU_DEP_1) | instskip(SKIP_1) | instid1(VALU_DEP_2)
	v_add3_u32 v5, v5, v7, v6
	v_mul_u32_u24_e32 v6, 0x8f, v3
	v_lshlrev_b64 v[3:4], 4, v[4:5]
	s_delay_alu instid0(VALU_DEP_2) | instskip(NEXT) | instid1(VALU_DEP_1)
	v_sub_nc_u32_e32 v84, v0, v6
	v_lshlrev_b32_e32 v42, 4, v84
	s_delay_alu instid0(VALU_DEP_3) | instskip(NEXT) | instid1(VALU_DEP_1)
	v_add_co_u32 v0, s0, s4, v3
	v_add_co_ci_u32_e64 v3, s0, s5, v4, s0
	s_mov_b32 s4, exec_lo
	s_delay_alu instid0(VALU_DEP_2) | instskip(NEXT) | instid1(VALU_DEP_1)
	v_add_co_u32 v0, s0, v0, v1
	v_add_co_ci_u32_e64 v1, s0, v3, v2, s0
	s_delay_alu instid0(VALU_DEP_2) | instskip(NEXT) | instid1(VALU_DEP_1)
	v_add_co_u32 v10, s0, v0, v42
	v_add_co_ci_u32_e64 v11, s0, 0, v1, s0
	s_clause 0x1
	global_load_b128 v[2:5], v[10:11], off
	global_load_b128 v[6:9], v[10:11], off offset:2288
	v_add_co_u32 v14, s0, 0x1000, v10
	s_delay_alu instid0(VALU_DEP_1) | instskip(SKIP_1) | instid1(VALU_DEP_1)
	v_add_co_ci_u32_e64 v15, s0, 0, v11, s0
	v_add_co_u32 v22, s0, 0x2000, v10
	v_add_co_ci_u32_e64 v23, s0, 0, v11, s0
	v_add_co_u32 v30, s0, 0x3000, v10
	s_delay_alu instid0(VALU_DEP_1) | instskip(SKIP_1) | instid1(VALU_DEP_1)
	v_add_co_ci_u32_e64 v31, s0, 0, v11, s0
	v_add_co_u32 v34, s0, 0x4000, v10
	v_add_co_ci_u32_e64 v35, s0, 0, v11, s0
	v_add_co_u32 v38, s0, 0x5000, v10
	s_delay_alu instid0(VALU_DEP_1)
	v_add_co_ci_u32_e64 v39, s0, 0, v11, s0
	s_clause 0x7
	global_load_b128 v[10:13], v[14:15], off offset:480
	global_load_b128 v[14:17], v[14:15], off offset:2768
	global_load_b128 v[18:21], v[22:23], off offset:960
	global_load_b128 v[22:25], v[22:23], off offset:3248
	global_load_b128 v[26:29], v[30:31], off offset:1440
	global_load_b128 v[30:33], v[30:31], off offset:3728
	global_load_b128 v[34:37], v[34:35], off offset:1920
	global_load_b128 v[38:41], v[38:39], off offset:112
	v_add_nc_u32_e32 v42, 0, v42
	s_waitcnt vmcnt(9)
	ds_store_b128 v42, v[2:5]
	s_waitcnt vmcnt(8)
	ds_store_b128 v42, v[6:9] offset:2288
	s_waitcnt vmcnt(7)
	ds_store_b128 v42, v[10:13] offset:4576
	;; [unrolled: 2-line block ×9, first 2 shown]
	v_cmpx_eq_u32_e32 0x8e, v84
	s_cbranch_execz .LBB0_14
; %bb.13:
	v_add_co_u32 v0, s0, 0x5000, v0
	s_delay_alu instid0(VALU_DEP_1)
	v_add_co_ci_u32_e64 v1, s0, 0, v1, s0
	v_mov_b32_e32 v4, 0
	v_mov_b32_e32 v84, 0x8e
	global_load_b128 v[0:3], v[0:1], off offset:2400
	s_waitcnt vmcnt(0)
	ds_store_b128 v4, v[0:3] offset:22880
.LBB0_14:
	s_or_b32 exec_lo, exec_lo, s4
.LBB0_15:
	s_delay_alu instid0(SALU_CYCLE_1)
	s_or_b32 exec_lo, exec_lo, s1
	v_lshlrev_b32_e32 v0, 4, v84
	s_waitcnt lgkmcnt(0)
	s_barrier
	buffer_gl0_inv
	s_add_u32 s1, s8, 0x5890
	v_add_nc_u32_e32 v125, 0, v0
	v_sub_nc_u32_e32 v10, 0, v0
	s_addc_u32 s4, s9, 0
	s_mov_b32 s5, exec_lo
                                        ; implicit-def: $vgpr4_vgpr5
	ds_load_b64 v[6:7], v125
	ds_load_b64 v[8:9], v10 offset:22880
	s_waitcnt lgkmcnt(0)
	v_add_f64 v[0:1], v[6:7], v[8:9]
	v_add_f64 v[2:3], v[6:7], -v[8:9]
	v_cmpx_ne_u32_e32 0, v84
	s_xor_b32 s5, exec_lo, s5
	s_cbranch_execz .LBB0_17
; %bb.16:
	v_mov_b32_e32 v85, 0
	v_add_f64 v[13:14], v[6:7], v[8:9]
	v_add_f64 v[15:16], v[6:7], -v[8:9]
	s_delay_alu instid0(VALU_DEP_3) | instskip(NEXT) | instid1(VALU_DEP_1)
	v_lshlrev_b64 v[0:1], 4, v[84:85]
	v_add_co_u32 v0, s0, s1, v0
	s_delay_alu instid0(VALU_DEP_1)
	v_add_co_ci_u32_e64 v1, s0, s4, v1, s0
	global_load_b128 v[2:5], v[0:1], off
	ds_load_b64 v[0:1], v10 offset:22888
	ds_load_b64 v[11:12], v125 offset:8
	s_waitcnt lgkmcnt(0)
	v_add_f64 v[6:7], v[0:1], v[11:12]
	v_add_f64 v[0:1], v[11:12], -v[0:1]
	s_waitcnt vmcnt(0)
	v_fma_f64 v[8:9], v[15:16], v[4:5], v[13:14]
	v_fma_f64 v[11:12], -v[15:16], v[4:5], v[13:14]
	s_delay_alu instid0(VALU_DEP_3) | instskip(SKIP_1) | instid1(VALU_DEP_4)
	v_fma_f64 v[13:14], v[6:7], v[4:5], -v[0:1]
	v_fma_f64 v[4:5], v[6:7], v[4:5], v[0:1]
	v_fma_f64 v[0:1], -v[6:7], v[2:3], v[8:9]
	s_delay_alu instid0(VALU_DEP_4) | instskip(NEXT) | instid1(VALU_DEP_4)
	v_fma_f64 v[6:7], v[6:7], v[2:3], v[11:12]
	v_fma_f64 v[8:9], v[15:16], v[2:3], v[13:14]
	s_delay_alu instid0(VALU_DEP_4)
	v_fma_f64 v[2:3], v[15:16], v[2:3], v[4:5]
	v_dual_mov_b32 v4, v84 :: v_dual_mov_b32 v5, v85
	ds_store_b128 v10, v[6:9] offset:22880
.LBB0_17:
	s_and_not1_saveexec_b32 s0, s5
	s_cbranch_execz .LBB0_19
; %bb.18:
	v_mov_b32_e32 v8, 0
	ds_load_b128 v[4:7], v8 offset:11440
	s_waitcnt lgkmcnt(0)
	v_add_f64 v[11:12], v[4:5], v[4:5]
	v_mul_f64 v[13:14], v[6:7], -2.0
	v_mov_b32_e32 v4, 0
	v_mov_b32_e32 v5, 0
	ds_store_b128 v8, v[11:14] offset:11440
.LBB0_19:
	s_or_b32 exec_lo, exec_lo, s0
	v_lshlrev_b64 v[4:5], 4, v[4:5]
	ds_store_b128 v125, v[0:3]
	s_mov_b32 s10, 0x4267c47c
	s_mov_b32 s11, 0xbfddbe06
	;; [unrolled: 1-line block ×4, first 2 shown]
	v_add_co_u32 v23, s0, s1, v4
	s_delay_alu instid0(VALU_DEP_1) | instskip(SKIP_1) | instid1(VALU_DEP_2)
	v_add_co_ci_u32_e64 v24, s0, s4, v5, s0
	s_mov_b32 s4, 0xe00740e9
	v_add_co_u32 v8, s0, 0x1000, v23
	global_load_b128 v[4:7], v[23:24], off offset:2288
	v_add_co_ci_u32_e64 v9, s0, 0, v24, s0
	s_mov_b32 s5, 0x3fec55a7
	s_mov_b32 s18, 0x66966769
	;; [unrolled: 1-line block ×3, first 2 shown]
	global_load_b128 v[11:14], v[8:9], off offset:480
	ds_load_b128 v[0:3], v125 offset:2288
	ds_load_b128 v[15:18], v10 offset:20592
	global_load_b128 v[19:22], v[8:9], off offset:2768
	s_mov_b32 s24, 0x24c2f84
	s_mov_b32 s22, 0x4bc48dbf
	;; [unrolled: 1-line block ×18, first 2 shown]
	s_waitcnt lgkmcnt(0)
	v_add_f64 v[8:9], v[0:1], v[15:16]
	v_add_f64 v[25:26], v[17:18], v[2:3]
	v_add_f64 v[15:16], v[0:1], -v[15:16]
	v_add_f64 v[0:1], v[2:3], -v[17:18]
	s_mov_b32 s35, 0x3fddbe06
	s_mov_b32 s43, 0x3fedeba7
	;; [unrolled: 1-line block ×9, first 2 shown]
	s_waitcnt vmcnt(2)
	s_delay_alu instid0(VALU_DEP_2) | instskip(NEXT) | instid1(VALU_DEP_2)
	v_fma_f64 v[2:3], v[15:16], v[6:7], v[8:9]
	v_fma_f64 v[17:18], v[25:26], v[6:7], v[0:1]
	v_fma_f64 v[8:9], -v[15:16], v[6:7], v[8:9]
	v_fma_f64 v[27:28], v[25:26], v[6:7], -v[0:1]
	s_delay_alu instid0(VALU_DEP_4) | instskip(NEXT) | instid1(VALU_DEP_4)
	v_fma_f64 v[0:1], -v[25:26], v[4:5], v[2:3]
	v_fma_f64 v[2:3], v[15:16], v[4:5], v[17:18]
	s_delay_alu instid0(VALU_DEP_4) | instskip(NEXT) | instid1(VALU_DEP_4)
	v_fma_f64 v[6:7], v[25:26], v[4:5], v[8:9]
	v_fma_f64 v[8:9], v[15:16], v[4:5], v[27:28]
	ds_store_b128 v125, v[0:3] offset:2288
	ds_store_b128 v10, v[6:9] offset:20592
	ds_load_b128 v[0:3], v125 offset:4576
	ds_load_b128 v[4:7], v10 offset:18304
	v_add_co_u32 v8, s0, 0x2000, v23
	s_delay_alu instid0(VALU_DEP_1)
	v_add_co_ci_u32_e64 v9, s0, 0, v24, s0
	s_mov_b32 s0, s16
	global_load_b128 v[15:18], v[8:9], off offset:960
	s_waitcnt lgkmcnt(0)
	v_add_f64 v[8:9], v[0:1], v[4:5]
	v_add_f64 v[23:24], v[6:7], v[2:3]
	v_add_f64 v[25:26], v[0:1], -v[4:5]
	v_add_f64 v[0:1], v[2:3], -v[6:7]
	s_waitcnt vmcnt(2)
	s_delay_alu instid0(VALU_DEP_2) | instskip(NEXT) | instid1(VALU_DEP_2)
	v_fma_f64 v[2:3], v[25:26], v[13:14], v[8:9]
	v_fma_f64 v[4:5], v[23:24], v[13:14], v[0:1]
	v_fma_f64 v[6:7], -v[25:26], v[13:14], v[8:9]
	v_fma_f64 v[8:9], v[23:24], v[13:14], -v[0:1]
	s_delay_alu instid0(VALU_DEP_4) | instskip(NEXT) | instid1(VALU_DEP_4)
	v_fma_f64 v[0:1], -v[23:24], v[11:12], v[2:3]
	v_fma_f64 v[2:3], v[25:26], v[11:12], v[4:5]
	s_delay_alu instid0(VALU_DEP_4) | instskip(NEXT) | instid1(VALU_DEP_4)
	v_fma_f64 v[4:5], v[23:24], v[11:12], v[6:7]
	v_fma_f64 v[6:7], v[25:26], v[11:12], v[8:9]
	ds_store_b128 v125, v[0:3] offset:4576
	ds_store_b128 v10, v[4:7] offset:18304
	ds_load_b128 v[0:3], v125 offset:6864
	ds_load_b128 v[4:7], v10 offset:16016
	s_waitcnt lgkmcnt(0)
	v_add_f64 v[8:9], v[0:1], v[4:5]
	v_add_f64 v[11:12], v[6:7], v[2:3]
	v_add_f64 v[13:14], v[0:1], -v[4:5]
	v_add_f64 v[0:1], v[2:3], -v[6:7]
	s_waitcnt vmcnt(1)
	s_delay_alu instid0(VALU_DEP_2) | instskip(NEXT) | instid1(VALU_DEP_2)
	v_fma_f64 v[2:3], v[13:14], v[21:22], v[8:9]
	v_fma_f64 v[4:5], v[11:12], v[21:22], v[0:1]
	v_fma_f64 v[6:7], -v[13:14], v[21:22], v[8:9]
	v_fma_f64 v[8:9], v[11:12], v[21:22], -v[0:1]
	s_delay_alu instid0(VALU_DEP_4) | instskip(NEXT) | instid1(VALU_DEP_4)
	v_fma_f64 v[0:1], -v[11:12], v[19:20], v[2:3]
	v_fma_f64 v[2:3], v[13:14], v[19:20], v[4:5]
	s_delay_alu instid0(VALU_DEP_4) | instskip(NEXT) | instid1(VALU_DEP_4)
	v_fma_f64 v[4:5], v[11:12], v[19:20], v[6:7]
	v_fma_f64 v[6:7], v[13:14], v[19:20], v[8:9]
	ds_store_b128 v125, v[0:3] offset:6864
	ds_store_b128 v10, v[4:7] offset:16016
	ds_load_b128 v[0:3], v125 offset:9152
	ds_load_b128 v[4:7], v10 offset:13728
	s_waitcnt lgkmcnt(0)
	v_add_f64 v[8:9], v[0:1], v[4:5]
	v_add_f64 v[11:12], v[6:7], v[2:3]
	v_add_f64 v[13:14], v[0:1], -v[4:5]
	v_add_f64 v[0:1], v[2:3], -v[6:7]
	s_waitcnt vmcnt(0)
	s_delay_alu instid0(VALU_DEP_2) | instskip(NEXT) | instid1(VALU_DEP_2)
	v_fma_f64 v[2:3], v[13:14], v[17:18], v[8:9]
	v_fma_f64 v[4:5], v[11:12], v[17:18], v[0:1]
	v_fma_f64 v[6:7], -v[13:14], v[17:18], v[8:9]
	v_fma_f64 v[8:9], v[11:12], v[17:18], -v[0:1]
	s_delay_alu instid0(VALU_DEP_4) | instskip(NEXT) | instid1(VALU_DEP_4)
	v_fma_f64 v[0:1], -v[11:12], v[15:16], v[2:3]
	v_fma_f64 v[2:3], v[13:14], v[15:16], v[4:5]
	s_delay_alu instid0(VALU_DEP_4) | instskip(NEXT) | instid1(VALU_DEP_4)
	v_fma_f64 v[4:5], v[11:12], v[15:16], v[6:7]
	v_fma_f64 v[6:7], v[13:14], v[15:16], v[8:9]
	ds_store_b128 v125, v[0:3] offset:9152
	ds_store_b128 v10, v[4:7] offset:13728
	s_waitcnt lgkmcnt(0)
	s_barrier
	buffer_gl0_inv
	s_barrier
	buffer_gl0_inv
	ds_load_b128 v[4:7], v125
	ds_load_b128 v[12:15], v125 offset:1760
	ds_load_b128 v[28:31], v125 offset:3520
	ds_load_b128 v[24:27], v125 offset:5280
	ds_load_b128 v[32:35], v125 offset:7040
	ds_load_b128 v[16:19], v125 offset:8800
	s_waitcnt lgkmcnt(4)
	v_add_f64 v[0:1], v[4:5], v[12:13]
	v_add_f64 v[2:3], v[6:7], v[14:15]
	s_waitcnt lgkmcnt(3)
	s_delay_alu instid0(VALU_DEP_2) | instskip(NEXT) | instid1(VALU_DEP_2)
	v_add_f64 v[0:1], v[0:1], v[28:29]
	v_add_f64 v[2:3], v[2:3], v[30:31]
	s_waitcnt lgkmcnt(2)
	s_delay_alu instid0(VALU_DEP_2) | instskip(NEXT) | instid1(VALU_DEP_2)
	;; [unrolled: 4-line block ×4, first 2 shown]
	v_add_f64 v[8:9], v[0:1], v[16:17]
	v_add_f64 v[10:11], v[2:3], v[18:19]
	ds_load_b128 v[20:23], v125 offset:10560
	ds_load_b128 v[0:3], v125 offset:21120
	;; [unrolled: 1-line block ×4, first 2 shown]
	s_waitcnt lgkmcnt(2)
	v_add_f64 v[107:108], v[14:15], -v[2:3]
	v_add_f64 v[14:15], v[14:15], v[2:3]
	v_add_f64 v[48:49], v[12:13], -v[0:1]
	v_add_f64 v[101:102], v[12:13], v[0:1]
	s_waitcnt lgkmcnt(0)
	v_add_f64 v[64:65], v[24:25], -v[40:41]
	v_add_f64 v[68:69], v[24:25], v[40:41]
	v_add_f64 v[111:112], v[26:27], -v[42:43]
	v_add_f64 v[26:27], v[26:27], v[42:43]
	v_add_f64 v[50:51], v[8:9], v[20:21]
	;; [unrolled: 1-line block ×3, first 2 shown]
	ds_load_b128 v[8:11], v125 offset:19360
	ds_load_b128 v[44:47], v125 offset:14080
	;; [unrolled: 1-line block ×3, first 2 shown]
	s_waitcnt lgkmcnt(0)
	s_barrier
	buffer_gl0_inv
	v_add_f64 v[109:110], v[30:31], -v[10:11]
	v_add_f64 v[30:31], v[30:31], v[10:11]
	v_mul_f64 v[70:71], v[107:108], s[10:11]
	v_mul_f64 v[87:88], v[14:15], s[4:5]
	v_add_f64 v[113:114], v[34:35], -v[105:106]
	v_add_f64 v[97:98], v[28:29], -v[8:9]
	;; [unrolled: 1-line block ×3, first 2 shown]
	v_add_f64 v[99:100], v[28:29], v[8:9]
	v_add_f64 v[60:61], v[32:33], v[103:104]
	;; [unrolled: 1-line block ×4, first 2 shown]
	v_mul_f64 v[93:94], v[107:108], s[16:17]
	v_add_f64 v[24:25], v[18:19], v[46:47]
	v_add_f64 v[58:59], v[16:17], -v[44:45]
	v_add_f64 v[16:17], v[18:19], -v[46:47]
	v_mul_f64 v[95:96], v[14:15], s[14:15]
	v_add_f64 v[78:79], v[50:51], v[36:37]
	v_add_f64 v[85:86], v[52:53], v[38:39]
	;; [unrolled: 1-line block ×4, first 2 shown]
	v_add_f64 v[52:53], v[20:21], -v[36:37]
	v_add_f64 v[20:21], v[22:23], -v[38:39]
	v_mul_f64 v[22:23], v[107:108], s[18:19]
	v_mul_f64 v[28:29], v[48:49], s[18:19]
	;; [unrolled: 1-line block ×18, first 2 shown]
	v_fma_f64 v[128:129], v[101:102], s[4:5], -v[70:71]
	v_fma_f64 v[136:137], v[48:49], s[10:11], v[87:88]
	v_mul_f64 v[89:90], v[109:110], s[20:21]
	v_mul_f64 v[91:92], v[30:31], s[30:31]
	;; [unrolled: 1-line block ×7, first 2 shown]
	v_fma_f64 v[140:141], v[101:102], s[14:15], -v[93:94]
	v_mul_f64 v[119:120], v[56:57], s[34:35]
	v_mul_f64 v[138:139], v[56:57], s[18:19]
	;; [unrolled: 1-line block ×3, first 2 shown]
	v_fma_f64 v[146:147], v[48:49], s[16:17], v[95:96]
	v_add_f64 v[32:33], v[78:79], v[44:45]
	v_add_f64 v[34:35], v[85:86], v[46:47]
	v_mul_f64 v[44:45], v[109:110], s[22:23]
	v_mul_f64 v[46:47], v[97:98], s[22:23]
	;; [unrolled: 1-line block ×4, first 2 shown]
	v_fma_f64 v[154:155], v[101:102], s[12:13], -v[22:23]
	v_fma_f64 v[162:163], v[14:15], s[12:13], v[28:29]
	v_fma_f64 v[22:23], v[101:102], s[12:13], v[22:23]
	v_fma_f64 v[28:29], v[14:15], s[12:13], -v[28:29]
	v_fma_f64 v[166:167], v[14:15], s[30:31], v[38:39]
	v_fma_f64 v[38:39], v[14:15], s[30:31], -v[38:39]
	v_fma_f64 v[174:175], v[101:102], s[28:29], -v[121:122]
	v_fma_f64 v[176:177], v[14:15], s[28:29], v[126:127]
	v_fma_f64 v[121:122], v[101:102], s[28:29], v[121:122]
	v_fma_f64 v[126:127], v[14:15], s[28:29], -v[126:127]
	v_fma_f64 v[184:185], v[101:102], s[26:27], -v[107:108]
	v_fma_f64 v[186:187], v[14:15], s[26:27], v[150:151]
	v_mul_f64 v[85:86], v[26:27], s[26:27]
	v_fma_f64 v[172:173], v[26:27], s[30:31], v[115:116]
	v_fma_f64 v[115:116], v[26:27], s[30:31], -v[115:116]
	v_fma_f64 v[182:183], v[26:27], s[4:5], v[134:135]
	v_fma_f64 v[158:159], v[99:100], s[14:15], -v[74:75]
	v_fma_f64 v[160:161], v[97:98], s[16:17], v[76:77]
	v_add_f64 v[128:129], v[4:5], v[128:129]
	v_add_f64 v[136:137], v[6:7], v[136:137]
	v_fma_f64 v[134:135], v[26:27], s[4:5], -v[134:135]
	v_fma_f64 v[164:165], v[97:98], s[20:21], v[91:92]
	v_fma_f64 v[178:179], v[99:100], s[28:29], -v[123:124]
	v_fma_f64 v[180:181], v[30:31], s[28:29], v[130:131]
	v_fma_f64 v[123:124], v[99:100], s[28:29], v[123:124]
	v_fma_f64 v[130:131], v[30:31], s[28:29], -v[130:131]
	v_fma_f64 v[107:108], v[101:102], s[26:27], v[107:108]
	v_add_f64 v[140:141], v[4:5], v[140:141]
	v_fma_f64 v[188:189], v[99:100], s[12:13], -v[142:143]
	v_fma_f64 v[14:15], v[14:15], s[26:27], -v[150:151]
	v_fma_f64 v[150:151], v[30:31], s[12:13], v[144:145]
	v_add_f64 v[146:147], v[6:7], v[146:147]
	v_add_f64 v[32:33], v[32:33], v[103:104]
	;; [unrolled: 1-line block ×3, first 2 shown]
	v_fma_f64 v[103:104], v[101:102], s[30:31], -v[36:37]
	v_fma_f64 v[36:37], v[101:102], s[30:31], v[36:37]
	v_fma_f64 v[105:106], v[99:100], s[30:31], -v[89:90]
	v_fma_f64 v[168:169], v[99:100], s[26:27], -v[44:45]
	v_fma_f64 v[170:171], v[30:31], s[26:27], v[46:47]
	v_fma_f64 v[44:45], v[99:100], s[26:27], v[44:45]
	v_fma_f64 v[46:47], v[30:31], s[26:27], -v[46:47]
	v_add_f64 v[154:155], v[4:5], v[154:155]
	v_add_f64 v[162:163], v[6:7], v[162:163]
	;; [unrolled: 1-line block ×4, first 2 shown]
	v_fma_f64 v[144:145], v[30:31], s[12:13], -v[144:145]
	v_add_f64 v[166:167], v[6:7], v[166:167]
	v_fma_f64 v[190:191], v[30:31], s[4:5], v[152:153]
	v_fma_f64 v[30:31], v[30:31], s[4:5], -v[152:153]
	v_fma_f64 v[152:153], v[26:27], s[28:29], v[156:157]
	v_add_f64 v[38:39], v[6:7], v[38:39]
	v_add_f64 v[176:177], v[6:7], v[176:177]
	v_fma_f64 v[142:143], v[99:100], s[12:13], v[142:143]
	v_add_f64 v[121:122], v[4:5], v[121:122]
	v_add_f64 v[126:127], v[6:7], v[126:127]
	;; [unrolled: 1-line block ×4, first 2 shown]
	v_mul_f64 v[158:159], v[56:57], s[0:1]
	v_add_f64 v[136:137], v[160:161], v[136:137]
	v_fma_f64 v[160:161], v[99:100], s[4:5], -v[109:110]
	v_add_f64 v[186:187], v[6:7], v[186:187]
	v_fma_f64 v[109:110], v[99:100], s[4:5], v[109:110]
	v_add_f64 v[192:193], v[4:5], v[107:108]
	v_mul_f64 v[107:108], v[12:13], s[28:29]
	v_add_f64 v[14:15], v[6:7], v[14:15]
	v_add_f64 v[146:147], v[164:165], v[146:147]
	v_add_f64 v[32:33], v[32:33], v[40:41]
	v_add_f64 v[34:35], v[34:35], v[42:43]
	v_fma_f64 v[40:41], v[26:27], s[14:15], v[148:149]
	v_add_f64 v[42:43], v[4:5], v[103:104]
	v_fma_f64 v[148:149], v[26:27], s[14:15], -v[148:149]
	v_add_f64 v[36:37], v[4:5], v[36:37]
	v_fma_f64 v[26:27], v[26:27], s[28:29], -v[156:157]
	v_add_f64 v[156:157], v[4:5], v[174:175]
	v_mul_f64 v[174:175], v[56:57], s[40:41]
	v_mul_f64 v[103:104], v[12:13], s[30:31]
	v_add_f64 v[140:141], v[105:106], v[140:141]
	v_mul_f64 v[164:165], v[111:112], s[16:17]
	v_add_f64 v[154:155], v[168:169], v[154:155]
	v_mul_f64 v[105:106], v[113:114], s[38:39]
	v_mul_f64 v[111:112], v[111:112], s[24:25]
	v_add_f64 v[162:163], v[170:171], v[162:163]
	v_fma_f64 v[168:169], v[68:69], s[12:13], -v[66:67]
	v_add_f64 v[22:23], v[44:45], v[22:23]
	v_fma_f64 v[44:45], v[64:65], s[18:19], v[72:73]
	v_add_f64 v[28:29], v[46:47], v[28:29]
	v_fma_f64 v[46:47], v[68:69], s[26:27], -v[78:79]
	v_fma_f64 v[170:171], v[64:65], s[22:23], v[85:86]
	v_add_f64 v[166:167], v[180:181], v[166:167]
	v_add_f64 v[38:39], v[130:131], v[38:39]
	v_fma_f64 v[130:131], v[68:69], s[4:5], -v[132:133]
	v_fma_f64 v[180:181], v[12:13], s[12:13], v[138:139]
	v_fma_f64 v[138:139], v[12:13], s[12:13], -v[138:139]
	v_add_f64 v[150:151], v[150:151], v[176:177]
	v_add_f64 v[121:122], v[142:143], v[121:122]
	v_fma_f64 v[142:143], v[12:13], s[14:15], v[158:159]
	v_fma_f64 v[158:159], v[12:13], s[14:15], -v[158:159]
	v_add_f64 v[126:127], v[144:145], v[126:127]
	v_add_f64 v[144:145], v[160:161], v[184:185]
	;; [unrolled: 1-line block ×3, first 2 shown]
	v_mul_f64 v[190:191], v[113:114], s[18:19]
	v_mul_f64 v[186:187], v[58:59], s[16:17]
	v_add_f64 v[14:15], v[30:31], v[14:15]
	v_mul_f64 v[30:31], v[58:59], s[40:41]
	v_add_f64 v[42:43], v[178:179], v[42:43]
	v_fma_f64 v[178:179], v[68:69], s[30:31], -v[117:118]
	v_add_f64 v[36:37], v[123:124], v[36:37]
	v_fma_f64 v[123:124], v[12:13], s[4:5], v[119:120]
	v_fma_f64 v[117:118], v[68:69], s[30:31], v[117:118]
	v_fma_f64 v[119:120], v[12:13], s[4:5], -v[119:120]
	v_fma_f64 v[176:177], v[12:13], s[26:27], v[174:175]
	v_fma_f64 v[174:175], v[12:13], s[26:27], -v[174:175]
	v_fma_f64 v[12:13], v[68:69], s[4:5], v[132:133]
	v_mul_f64 v[132:133], v[113:114], s[34:35]
	v_add_f64 v[156:157], v[188:189], v[156:157]
	v_fma_f64 v[160:161], v[68:69], s[14:15], -v[164:165]
	v_add_f64 v[188:189], v[109:110], v[192:193]
	v_fma_f64 v[164:165], v[68:69], s[14:15], v[164:165]
	v_add_f64 v[128:129], v[168:169], v[128:129]
	v_mul_f64 v[168:169], v[58:59], s[34:35]
	v_add_f64 v[44:45], v[44:45], v[136:137]
	v_fma_f64 v[136:137], v[68:69], s[28:29], -v[111:112]
	v_add_f64 v[46:47], v[46:47], v[140:141]
	v_mul_f64 v[140:141], v[58:59], s[20:21]
	v_add_f64 v[146:147], v[170:171], v[146:147]
	v_mul_f64 v[170:171], v[113:114], s[40:41]
	v_fma_f64 v[192:193], v[68:69], s[28:29], v[111:112]
	v_add_f64 v[162:163], v[172:173], v[162:163]
	v_fma_f64 v[172:173], v[60:61], s[30:31], -v[62:63]
	v_fma_f64 v[194:195], v[60:61], s[28:29], -v[105:106]
	v_mul_f64 v[111:112], v[24:25], s[28:29]
	v_add_f64 v[40:41], v[40:41], v[150:151]
	v_mul_f64 v[109:110], v[16:17], s[24:25]
	v_add_f64 v[28:29], v[115:116], v[28:29]
	v_add_f64 v[126:127], v[148:149], v[126:127]
	v_fma_f64 v[150:151], v[60:61], s[12:13], -v[190:191]
	v_mul_f64 v[115:116], v[24:25], s[12:13]
	v_add_f64 v[14:15], v[26:27], v[14:15]
	v_mul_f64 v[26:27], v[52:53], s[24:25]
	v_add_f64 v[42:43], v[130:131], v[42:43]
	v_add_f64 v[154:155], v[178:179], v[154:155]
	v_mul_f64 v[178:179], v[113:114], s[0:1]
	v_add_f64 v[130:131], v[182:183], v[166:167]
	v_add_f64 v[22:23], v[117:118], v[22:23]
	v_fma_f64 v[117:118], v[56:57], s[20:21], v[103:104]
	v_fma_f64 v[166:167], v[56:57], s[38:39], v[107:108]
	v_mul_f64 v[113:114], v[16:17], s[36:37]
	v_add_f64 v[12:13], v[12:13], v[36:37]
	v_add_f64 v[36:37], v[134:135], v[38:39]
	v_fma_f64 v[38:39], v[60:61], s[4:5], -v[132:133]
	v_fma_f64 v[132:133], v[60:61], s[4:5], v[132:133]
	v_add_f64 v[134:135], v[160:161], v[156:157]
	v_fma_f64 v[156:157], v[24:25], s[14:15], v[186:187]
	v_fma_f64 v[160:161], v[24:25], s[14:15], -v[186:187]
	v_add_f64 v[164:165], v[164:165], v[121:122]
	v_fma_f64 v[182:183], v[24:25], s[26:27], v[30:31]
	v_fma_f64 v[121:122], v[60:61], s[12:13], v[190:191]
	v_fma_f64 v[30:31], v[24:25], s[26:27], -v[30:31]
	v_fma_f64 v[148:149], v[24:25], s[4:5], v[168:169]
	v_fma_f64 v[168:169], v[24:25], s[4:5], -v[168:169]
	v_add_f64 v[136:137], v[136:137], v[144:145]
	v_fma_f64 v[144:145], v[24:25], s[30:31], v[140:141]
	v_fma_f64 v[140:141], v[24:25], s[30:31], -v[140:141]
	v_add_f64 v[24:25], v[152:153], v[184:185]
	v_fma_f64 v[152:153], v[60:61], s[26:27], -v[170:171]
	v_add_f64 v[184:185], v[192:193], v[188:189]
	v_mul_f64 v[186:187], v[16:17], s[16:17]
	v_fma_f64 v[170:171], v[60:61], s[26:27], v[170:171]
	v_add_f64 v[128:129], v[172:173], v[128:129]
	v_mul_f64 v[172:173], v[52:53], s[0:1]
	v_add_f64 v[46:47], v[194:195], v[46:47]
	v_mul_f64 v[190:191], v[52:53], s[20:21]
	v_add_f64 v[162:163], v[123:124], v[162:163]
	v_fma_f64 v[192:193], v[54:55], s[28:29], -v[109:110]
	v_add_f64 v[28:29], v[119:120], v[28:29]
	v_fma_f64 v[194:195], v[58:59], s[36:37], v[115:116]
	v_mul_f64 v[119:120], v[18:19], s[26:27]
	v_add_f64 v[42:43], v[150:151], v[42:43]
	v_add_f64 v[40:41], v[176:177], v[40:41]
	v_fma_f64 v[188:189], v[60:61], s[14:15], -v[178:179]
	v_fma_f64 v[178:179], v[60:61], s[14:15], v[178:179]
	v_add_f64 v[130:131], v[180:181], v[130:131]
	v_add_f64 v[44:45], v[117:118], v[44:45]
	;; [unrolled: 1-line block ×3, first 2 shown]
	v_mul_f64 v[166:167], v[52:53], s[36:37]
	v_fma_f64 v[150:151], v[54:55], s[12:13], -v[113:114]
	v_mul_f64 v[180:181], v[16:17], s[34:35]
	v_add_f64 v[38:39], v[38:39], v[154:155]
	v_mul_f64 v[154:155], v[16:17], s[40:41]
	v_add_f64 v[22:23], v[132:133], v[22:23]
	v_fma_f64 v[132:133], v[58:59], s[24:25], v[111:112]
	v_mul_f64 v[16:17], v[16:17], s[20:21]
	v_mul_f64 v[117:118], v[20:21], s[22:23]
	v_add_f64 v[36:37], v[138:139], v[36:37]
	v_add_f64 v[12:13], v[121:122], v[12:13]
	v_mul_f64 v[121:122], v[20:21], s[34:35]
	v_fma_f64 v[176:177], v[18:19], s[28:29], -v[26:27]
	v_mul_f64 v[123:124], v[18:19], s[4:5]
	v_add_f64 v[14:15], v[158:159], v[14:15]
	v_mul_f64 v[158:159], v[20:21], s[24:25]
	v_add_f64 v[24:25], v[142:143], v[24:25]
	v_add_f64 v[134:135], v[152:153], v[134:135]
	v_fma_f64 v[138:139], v[54:55], s[14:15], -v[186:187]
	v_add_f64 v[152:153], v[170:171], v[164:165]
	v_fma_f64 v[164:165], v[18:19], s[28:29], v[26:27]
	v_fma_f64 v[170:171], v[54:55], s[14:15], v[186:187]
	v_add_f64 v[26:27], v[174:175], v[126:127]
	v_fma_f64 v[126:127], v[18:19], s[14:15], v[172:173]
	v_fma_f64 v[172:173], v[18:19], s[14:15], -v[172:173]
	v_fma_f64 v[174:175], v[18:19], s[30:31], v[190:191]
	v_fma_f64 v[186:187], v[18:19], s[30:31], -v[190:191]
	v_add_f64 v[128:129], v[192:193], v[128:129]
	v_add_f64 v[156:157], v[156:157], v[162:163]
	v_fma_f64 v[162:163], v[52:53], s[22:23], v[119:120]
	v_add_f64 v[28:29], v[160:161], v[28:29]
	v_add_f64 v[136:137], v[188:189], v[136:137]
	;; [unrolled: 1-line block ×4, first 2 shown]
	v_fma_f64 v[142:143], v[18:19], s[12:13], v[166:167]
	v_fma_f64 v[166:167], v[18:19], s[12:13], -v[166:167]
	v_add_f64 v[18:19], v[178:179], v[184:185]
	v_mul_f64 v[184:185], v[20:21], s[0:1]
	v_fma_f64 v[178:179], v[54:55], s[26:27], -v[154:155]
	v_fma_f64 v[154:155], v[54:55], s[26:27], v[154:155]
	v_add_f64 v[132:133], v[132:133], v[44:45]
	v_mul_f64 v[44:45], v[20:21], s[20:21]
	v_mul_f64 v[20:21], v[20:21], s[36:37]
	v_add_f64 v[150:151], v[150:151], v[46:47]
	v_fma_f64 v[46:47], v[54:55], s[4:5], -v[180:181]
	v_fma_f64 v[180:181], v[54:55], s[4:5], v[180:181]
	v_fma_f64 v[188:189], v[54:55], s[30:31], -v[16:17]
	v_fma_f64 v[16:17], v[54:55], s[30:31], v[16:17]
	v_fma_f64 v[160:161], v[52:53], s[34:35], v[123:124]
	v_add_f64 v[30:31], v[30:31], v[36:37]
	v_add_f64 v[140:141], v[140:141], v[14:15]
	;; [unrolled: 1-line block ×3, first 2 shown]
	s_mov_b32 s1, exec_lo
	v_add_f64 v[38:39], v[138:139], v[38:39]
	v_fma_f64 v[138:139], v[50:51], s[26:27], -v[117:118]
	v_add_f64 v[22:23], v[170:171], v[22:23]
	v_fma_f64 v[170:171], v[50:51], s[4:5], -v[121:122]
	v_fma_f64 v[182:183], v[50:51], s[14:15], -v[184:185]
	v_add_f64 v[178:179], v[178:179], v[42:43]
	v_fma_f64 v[42:43], v[50:51], s[28:29], -v[158:159]
	v_fma_f64 v[158:159], v[50:51], s[28:29], v[158:159]
	v_fma_f64 v[184:185], v[50:51], s[14:15], v[184:185]
	v_add_f64 v[12:13], v[154:155], v[12:13]
	v_fma_f64 v[154:155], v[50:51], s[30:31], -v[44:45]
	v_fma_f64 v[190:191], v[50:51], s[30:31], v[44:45]
	v_fma_f64 v[192:193], v[50:51], s[12:13], -v[20:21]
	v_fma_f64 v[194:195], v[50:51], s[12:13], v[20:21]
	v_add_f64 v[20:21], v[46:47], v[134:135]
	v_add_f64 v[134:135], v[148:149], v[40:41]
	;; [unrolled: 1-line block ×30, first 2 shown]
	v_cmpx_gt_u32_e32 0x6e, v84
	s_cbranch_execz .LBB0_21
; %bb.20:
	v_mul_f64 v[126:127], v[48:49], s[16:17]
	v_mul_f64 v[128:129], v[101:102], s[14:15]
	;; [unrolled: 1-line block ×8, first 2 shown]
	v_add_f64 v[95:96], v[95:96], -v[126:127]
	v_add_f64 v[93:94], v[128:129], v[93:94]
	v_add_f64 v[48:49], v[87:88], -v[48:49]
	v_add_f64 v[70:71], v[101:102], v[70:71]
	v_mul_f64 v[87:88], v[68:69], s[12:13]
	v_mul_f64 v[101:102], v[64:65], s[18:19]
	;; [unrolled: 1-line block ×4, first 2 shown]
	v_add_f64 v[91:92], v[91:92], -v[130:131]
	v_add_f64 v[89:90], v[132:133], v[89:90]
	v_add_f64 v[76:77], v[76:77], -v[97:98]
	v_add_f64 v[74:75], v[99:100], v[74:75]
	v_add_f64 v[95:96], v[6:7], v[95:96]
	;; [unrolled: 1-line block ×5, first 2 shown]
	v_mul_f64 v[48:49], v[60:61], s[30:31]
	v_mul_f64 v[70:71], v[56:57], s[20:21]
	;; [unrolled: 1-line block ×4, first 2 shown]
	v_add_f64 v[64:65], v[85:86], -v[64:65]
	v_add_f64 v[68:69], v[68:69], v[78:79]
	v_add_f64 v[72:73], v[72:73], -v[101:102]
	v_add_f64 v[66:67], v[87:88], v[66:67]
	v_add_f64 v[78:79], v[91:92], v[95:96]
	;; [unrolled: 1-line block ×5, first 2 shown]
	v_mul_f64 v[74:75], v[54:55], s[28:29]
	v_mul_f64 v[76:77], v[58:59], s[24:25]
	;; [unrolled: 1-line block ×4, first 2 shown]
	v_add_f64 v[56:57], v[107:108], -v[56:57]
	v_add_f64 v[60:61], v[60:61], v[105:106]
	v_add_f64 v[48:49], v[48:49], v[62:63]
	v_add_f64 v[70:71], v[103:104], -v[70:71]
	v_add_f64 v[62:63], v[64:65], v[78:79]
	v_add_f64 v[64:65], v[68:69], v[85:86]
	;; [unrolled: 1-line block ×4, first 2 shown]
	v_mul_f64 v[66:67], v[50:51], s[26:27]
	v_mul_f64 v[68:69], v[52:53], s[22:23]
	;; [unrolled: 1-line block ×4, first 2 shown]
	v_add_f64 v[58:59], v[115:116], -v[58:59]
	v_add_f64 v[54:55], v[54:55], v[113:114]
	v_add_f64 v[72:73], v[111:112], -v[76:77]
	v_add_f64 v[74:75], v[74:75], v[109:110]
	v_add_f64 v[56:57], v[56:57], v[62:63]
	;; [unrolled: 1-line block ×7, first 2 shown]
	v_add_f64 v[48:49], v[123:124], -v[52:53]
	v_add_f64 v[52:53], v[119:120], -v[68:69]
	v_add_f64 v[56:57], v[58:59], v[56:57]
	v_add_f64 v[54:55], v[54:55], v[60:61]
	;; [unrolled: 1-line block ×4, first 2 shown]
	s_delay_alu instid0(VALU_DEP_4) | instskip(NEXT) | instid1(VALU_DEP_4)
	v_add_f64 v[6:7], v[48:49], v[56:57]
	v_add_f64 v[4:5], v[50:51], v[54:55]
	s_delay_alu instid0(VALU_DEP_4) | instskip(NEXT) | instid1(VALU_DEP_4)
	v_add_f64 v[50:51], v[52:53], v[58:59]
	v_add_f64 v[48:49], v[62:63], v[60:61]
	v_mad_u32_u24 v52, 0xc0, v84, v125
	ds_store_b128 v52, v[0:3]
	ds_store_b128 v52, v[44:47] offset:16
	ds_store_b128 v52, v[16:19] offset:32
	;; [unrolled: 1-line block ×12, first 2 shown]
.LBB0_21:
	s_or_b32 exec_lo, exec_lo, s1
	v_cmp_gt_u32_e64 s0, 0x82, v84
	s_waitcnt lgkmcnt(0)
	s_barrier
	buffer_gl0_inv
	s_and_saveexec_b32 s1, s0
	s_cbranch_execz .LBB0_23
; %bb.22:
	ds_load_b128 v[0:3], v125
	ds_load_b128 v[44:47], v125 offset:2080
	ds_load_b128 v[16:19], v125 offset:4160
	;; [unrolled: 1-line block ×10, first 2 shown]
.LBB0_23:
	s_or_b32 exec_lo, exec_lo, s1
	s_waitcnt lgkmcnt(0)
	s_barrier
	buffer_gl0_inv
	s_and_saveexec_b32 s33, s0
	s_cbranch_execz .LBB0_25
; %bb.24:
	v_and_b32_e32 v4, 0xff, v84
	s_mov_b32 s14, 0x640f44db
	s_mov_b32 s4, 0xd9c712b6
	;; [unrolled: 1-line block ×4, first 2 shown]
	v_mul_lo_u16 v4, 0x4f, v4
	s_mov_b32 s12, 0xbb3a28a1
	s_mov_b32 s18, 0x8764f0ba
	;; [unrolled: 1-line block ×4, first 2 shown]
	v_lshrrev_b16 v85, 10, v4
	s_mov_b32 s15, 0xbfc2375f
	s_mov_b32 s16, 0x43842ef
	;; [unrolled: 1-line block ×4, first 2 shown]
	v_mul_lo_u16 v4, v85, 13
	s_mov_b32 s1, 0xbfe4f49e
	s_mov_b32 s13, 0x3fe82f19
	;; [unrolled: 1-line block ×4, first 2 shown]
	v_sub_nc_u16 v4, v84, v4
	s_mov_b32 s23, 0x3fd207e7
	s_mov_b32 s31, 0xbfe82f19
	;; [unrolled: 1-line block ×4, first 2 shown]
	v_and_b32_e32 v86, 0xff, v4
	s_mov_b32 s26, s22
	s_mov_b32 s17, 0x3fefac9e
	;; [unrolled: 1-line block ×4, first 2 shown]
	v_mul_u32_u24_e32 v4, 10, v86
	s_mov_b32 s24, 0xf8bb580b
	s_mov_b32 s25, 0xbfe14ced
	;; [unrolled: 1-line block ×4, first 2 shown]
	v_lshlrev_b32_e32 v52, 4, v4
	s_mov_b32 s34, s10
	s_mov_b32 s28, s24
	s_clause 0x9
	global_load_b128 v[87:90], v52, s[8:9]
	global_load_b128 v[4:7], v52, s[8:9] offset:32
	global_load_b128 v[48:51], v52, s[8:9] offset:112
	;; [unrolled: 1-line block ×9, first 2 shown]
	s_waitcnt vmcnt(9)
	v_mul_f64 v[91:92], v[44:45], v[89:90]
	v_mul_f64 v[89:90], v[46:47], v[89:90]
	s_waitcnt vmcnt(8)
	v_mul_f64 v[93:94], v[24:25], v[6:7]
	s_waitcnt vmcnt(7)
	v_mul_f64 v[95:96], v[32:33], v[50:51]
	s_waitcnt vmcnt(6)
	v_mul_f64 v[97:98], v[16:17], v[70:71]
	s_waitcnt vmcnt(5)
	v_mul_f64 v[99:100], v[36:37], v[78:79]
	s_waitcnt vmcnt(4)
	v_mul_f64 v[101:102], v[40:41], v[74:75]
	v_mul_f64 v[70:71], v[18:19], v[70:71]
	;; [unrolled: 1-line block ×5, first 2 shown]
	s_waitcnt vmcnt(1)
	v_mul_f64 v[103:104], v[12:13], v[58:59]
	v_mul_f64 v[58:59], v[14:15], v[58:59]
	s_waitcnt vmcnt(0)
	v_mul_f64 v[105:106], v[20:21], v[54:55]
	v_mul_f64 v[54:55], v[22:23], v[54:55]
	v_fma_f64 v[46:47], v[46:47], v[87:88], v[91:92]
	v_fma_f64 v[44:45], v[44:45], v[87:88], -v[89:90]
	v_mul_f64 v[87:88], v[26:27], v[6:7]
	v_fma_f64 v[93:94], v[26:27], v[4:5], v[93:94]
	v_fma_f64 v[26:27], v[34:35], v[48:49], v[95:96]
	;; [unrolled: 1-line block ×5, first 2 shown]
	v_fma_f64 v[42:43], v[16:17], v[68:69], -v[70:71]
	v_mul_f64 v[89:90], v[8:9], v[62:63]
	v_mul_f64 v[91:92], v[28:29], v[66:67]
	;; [unrolled: 1-line block ×4, first 2 shown]
	v_fma_f64 v[16:17], v[36:37], v[76:77], -v[78:79]
	v_fma_f64 v[14:15], v[14:15], v[56:57], v[103:104]
	v_fma_f64 v[12:13], v[12:13], v[56:57], -v[58:59]
	v_fma_f64 v[22:23], v[22:23], v[52:53], v[105:106]
	v_fma_f64 v[20:21], v[20:21], v[52:53], -v[54:55]
	v_add_f64 v[38:39], v[2:3], v[46:47]
	v_add_f64 v[68:69], v[0:1], v[44:45]
	v_fma_f64 v[70:71], v[24:25], v[4:5], -v[87:88]
	v_fma_f64 v[24:25], v[32:33], v[48:49], -v[50:51]
	;; [unrolled: 1-line block ×3, first 2 shown]
	v_add_f64 v[32:33], v[93:94], v[26:27]
	v_add_f64 v[36:37], v[34:35], v[18:19]
	v_add_f64 v[50:51], v[34:35], -v[18:19]
	v_add_f64 v[40:41], v[46:47], v[6:7]
	v_add_f64 v[46:47], v[46:47], -v[6:7]
	v_fma_f64 v[10:11], v[10:11], v[60:61], v[89:90]
	v_fma_f64 v[30:31], v[30:31], v[64:65], v[91:92]
	v_fma_f64 v[8:9], v[8:9], v[60:61], -v[62:63]
	v_fma_f64 v[28:29], v[28:29], v[64:65], -v[66:67]
	v_add_f64 v[48:49], v[93:94], -v[26:27]
	v_add_f64 v[54:55], v[42:43], -v[16:17]
	v_add_f64 v[66:67], v[14:15], v[22:23]
	v_add_f64 v[74:75], v[12:13], -v[20:21]
	v_add_f64 v[76:77], v[12:13], v[20:21]
	v_add_f64 v[34:35], v[38:39], v[34:35]
	;; [unrolled: 1-line block ×4, first 2 shown]
	v_add_f64 v[52:53], v[70:71], -v[24:25]
	v_add_f64 v[56:57], v[44:45], -v[4:5]
	v_add_f64 v[44:45], v[44:45], v[4:5]
	v_add_f64 v[58:59], v[70:71], v[24:25]
	v_mul_f64 v[87:88], v[36:37], s[18:19]
	v_mul_f64 v[89:90], v[40:41], s[20:21]
	v_mul_f64 v[97:98], v[46:47], s[26:27]
	v_mul_f64 v[99:100], v[40:41], s[0:1]
	v_mul_f64 v[101:102], v[46:47], s[30:31]
	v_mul_f64 v[111:112], v[40:41], s[4:5]
	v_mul_f64 v[113:114], v[46:47], s[10:11]
	v_mul_f64 v[107:108], v[46:47], s[36:37]
	v_mul_f64 v[46:47], v[46:47], s[24:25]
	v_add_f64 v[60:61], v[10:11], v[30:31]
	v_add_f64 v[62:63], v[8:9], -v[28:29]
	v_add_f64 v[64:65], v[10:11], -v[30:31]
	v_add_f64 v[72:73], v[8:9], v[28:29]
	v_mul_f64 v[95:96], v[50:51], s[28:29]
	v_mul_f64 v[105:106], v[36:37], s[14:15]
	;; [unrolled: 1-line block ×13, first 2 shown]
	v_add_f64 v[68:69], v[14:15], -v[22:23]
	v_mul_f64 v[115:116], v[32:33], s[4:5]
	v_mul_f64 v[119:120], v[48:49], s[34:35]
	;; [unrolled: 1-line block ×4, first 2 shown]
	v_add_f64 v[34:35], v[34:35], v[93:94]
	v_add_f64 v[38:39], v[38:39], v[70:71]
	v_mul_f64 v[93:94], v[40:41], s[14:15]
	v_mul_f64 v[40:41], v[40:41], s[18:19]
	;; [unrolled: 1-line block ×6, first 2 shown]
	v_fma_f64 v[160:161], v[56:57], s[22:23], v[89:90]
	v_fma_f64 v[164:165], v[44:45], s[20:21], v[97:98]
	v_fma_f64 v[89:90], v[56:57], s[26:27], v[89:90]
	v_fma_f64 v[97:98], v[44:45], s[20:21], -v[97:98]
	v_fma_f64 v[166:167], v[56:57], s[12:13], v[99:100]
	v_fma_f64 v[168:169], v[44:45], s[0:1], v[101:102]
	v_fma_f64 v[99:100], v[56:57], s[30:31], v[99:100]
	v_fma_f64 v[101:102], v[44:45], s[0:1], -v[101:102]
	;; [unrolled: 4-line block ×3, first 2 shown]
	v_fma_f64 v[172:173], v[44:45], s[14:15], v[107:108]
	v_fma_f64 v[107:108], v[44:45], s[14:15], -v[107:108]
	v_fma_f64 v[180:181], v[44:45], s[18:19], v[46:47]
	v_fma_f64 v[44:45], v[44:45], s[18:19], -v[46:47]
	v_mul_f64 v[132:133], v[60:61], s[4:5]
	v_mul_f64 v[134:135], v[60:61], s[20:21]
	v_fma_f64 v[190:191], v[54:55], s[34:35], v[36:37]
	v_fma_f64 v[36:37], v[54:55], s[10:11], v[36:37]
	v_mul_f64 v[136:137], v[60:61], s[18:19]
	v_mul_f64 v[138:139], v[60:61], s[14:15]
	;; [unrolled: 1-line block ×6, first 2 shown]
	v_fma_f64 v[158:159], v[52:53], s[12:13], v[78:79]
	v_fma_f64 v[162:163], v[58:59], s[0:1], v[91:92]
	;; [unrolled: 1-line block ×3, first 2 shown]
	v_fma_f64 v[91:92], v[58:59], s[0:1], -v[91:92]
	v_add_f64 v[10:11], v[34:35], v[10:11]
	v_add_f64 v[8:9], v[38:39], v[8:9]
	v_fma_f64 v[170:171], v[56:57], s[16:17], v[93:94]
	v_fma_f64 v[93:94], v[56:57], s[36:37], v[93:94]
	;; [unrolled: 1-line block ×7, first 2 shown]
	v_fma_f64 v[95:96], v[42:43], s[18:19], -v[95:96]
	v_fma_f64 v[56:57], v[54:55], s[36:37], v[105:106]
	v_fma_f64 v[184:185], v[42:43], s[14:15], v[70:71]
	v_fma_f64 v[70:71], v[42:43], s[14:15], -v[70:71]
	v_add_f64 v[160:161], v[2:3], v[160:161]
	v_add_f64 v[164:165], v[0:1], v[164:165]
	;; [unrolled: 1-line block ×11, first 2 shown]
	v_fma_f64 v[105:106], v[54:55], s[16:17], v[105:106]
	v_add_f64 v[107:108], v[0:1], v[107:108]
	v_add_f64 v[172:173], v[0:1], v[172:173]
	;; [unrolled: 1-line block ×5, first 2 shown]
	v_fma_f64 v[44:45], v[42:43], s[0:1], v[130:131]
	v_fma_f64 v[46:47], v[52:53], s[28:29], v[103:104]
	v_fma_f64 v[182:183], v[58:59], s[18:19], v[109:110]
	v_mul_f64 v[144:145], v[64:65], s[24:25]
	v_fma_f64 v[103:104], v[52:53], s[24:25], v[103:104]
	v_fma_f64 v[186:187], v[52:53], s[10:11], v[115:116]
	;; [unrolled: 1-line block ×4, first 2 shown]
	v_add_f64 v[10:11], v[10:11], v[14:15]
	v_add_f64 v[8:9], v[8:9], v[12:13]
	v_fma_f64 v[12:13], v[54:55], s[12:13], v[126:127]
	v_fma_f64 v[126:127], v[54:55], s[30:31], v[126:127]
	v_add_f64 v[170:171], v[2:3], v[170:171]
	v_add_f64 v[93:94], v[2:3], v[93:94]
	;; [unrolled: 1-line block ×4, first 2 shown]
	v_fma_f64 v[40:41], v[42:43], s[0:1], -v[130:131]
	v_fma_f64 v[14:15], v[54:55], s[26:27], v[117:118]
	v_fma_f64 v[117:118], v[54:55], s[22:23], v[117:118]
	;; [unrolled: 1-line block ×3, first 2 shown]
	v_fma_f64 v[121:122], v[42:43], s[20:21], -v[121:122]
	v_fma_f64 v[130:131], v[42:43], s[4:5], v[50:51]
	v_fma_f64 v[42:43], v[42:43], s[4:5], -v[50:51]
	v_fma_f64 v[50:51], v[52:53], s[26:27], v[123:124]
	v_fma_f64 v[123:124], v[52:53], s[22:23], v[123:124]
	v_add_f64 v[38:39], v[38:39], v[164:165]
	v_add_f64 v[87:88], v[87:88], v[89:90]
	;; [unrolled: 1-line block ×6, first 2 shown]
	v_fma_f64 v[119:120], v[58:59], s[4:5], -v[119:120]
	v_add_f64 v[99:100], v[105:106], v[99:100]
	v_fma_f64 v[109:110], v[58:59], s[18:19], -v[109:110]
	v_add_f64 v[34:35], v[34:35], v[160:161]
	v_mul_f64 v[64:65], v[64:65], s[30:31]
	v_mul_f64 v[154:155], v[68:69], s[34:35]
	v_mul_f64 v[160:161], v[66:67], s[18:19]
	v_add_f64 v[44:45], v[44:45], v[176:177]
	v_mul_f64 v[164:165], v[68:69], s[28:29]
	v_fma_f64 v[89:90], v[62:63], s[10:11], v[132:133]
	v_fma_f64 v[132:133], v[62:63], s[34:35], v[132:133]
	;; [unrolled: 1-line block ×6, first 2 shown]
	v_add_f64 v[10:11], v[10:11], v[22:23]
	v_add_f64 v[8:9], v[8:9], v[20:21]
	v_fma_f64 v[22:23], v[58:59], s[20:21], v[128:129]
	v_fma_f64 v[128:129], v[58:59], s[20:21], -v[128:129]
	v_add_f64 v[101:102], v[126:127], v[111:112]
	v_add_f64 v[12:13], v[12:13], v[174:175]
	v_fma_f64 v[20:21], v[52:53], s[16:17], v[32:33]
	v_fma_f64 v[32:33], v[52:53], s[36:37], v[32:33]
	v_add_f64 v[40:41], v[40:41], v[113:114]
	v_add_f64 v[14:15], v[14:15], v[170:171]
	;; [unrolled: 1-line block ×5, first 2 shown]
	v_fma_f64 v[52:53], v[58:59], s[14:15], v[48:49]
	v_fma_f64 v[48:49], v[58:59], s[14:15], -v[48:49]
	v_add_f64 v[2:3], v[36:37], v[2:3]
	v_add_f64 v[0:1], v[42:43], v[0:1]
	;; [unrolled: 1-line block ×3, first 2 shown]
	v_fma_f64 v[184:185], v[62:63], s[36:37], v[138:139]
	v_fma_f64 v[138:139], v[62:63], s[16:17], v[138:139]
	;; [unrolled: 1-line block ×4, first 2 shown]
	v_fma_f64 v[126:127], v[72:73], s[14:15], -v[146:147]
	v_add_f64 v[38:39], v[162:163], v[38:39]
	v_add_f64 v[78:79], v[78:79], v[87:88]
	;; [unrolled: 1-line block ×5, first 2 shown]
	v_mul_f64 v[150:151], v[68:69], s[36:37]
	v_mul_f64 v[58:59], v[68:69], s[30:31]
	;; [unrolled: 1-line block ×3, first 2 shown]
	v_fma_f64 v[117:118], v[72:73], s[18:19], -v[144:145]
	v_add_f64 v[91:92], v[103:104], v[99:100]
	v_fma_f64 v[111:112], v[72:73], s[20:21], -v[142:143]
	v_add_f64 v[70:71], v[109:110], v[70:71]
	v_mul_f64 v[148:149], v[66:67], s[14:15]
	v_add_f64 v[34:35], v[158:159], v[34:35]
	v_mul_f64 v[66:67], v[66:67], s[20:21]
	v_add_f64 v[10:11], v[10:11], v[30:31]
	v_add_f64 v[8:9], v[8:9], v[28:29]
	;; [unrolled: 1-line block ×3, first 2 shown]
	v_fma_f64 v[30:31], v[62:63], s[12:13], v[60:61]
	v_fma_f64 v[62:63], v[72:73], s[20:21], v[142:143]
	v_add_f64 v[95:96], v[123:124], v[101:102]
	v_fma_f64 v[60:61], v[72:73], s[4:5], -v[140:141]
	v_fma_f64 v[113:114], v[72:73], s[18:19], v[144:145]
	v_add_f64 v[40:41], v[128:129], v[40:41]
	v_add_f64 v[14:15], v[186:187], v[14:15]
	;; [unrolled: 1-line block ×5, first 2 shown]
	v_fma_f64 v[121:122], v[72:73], s[14:15], v[146:147]
	v_add_f64 v[12:13], v[50:51], v[12:13]
	v_add_f64 v[22:23], v[22:23], v[44:45]
	v_fma_f64 v[130:131], v[72:73], s[0:1], v[64:65]
	v_fma_f64 v[64:65], v[72:73], s[0:1], -v[64:65]
	v_add_f64 v[2:3], v[32:33], v[2:3]
	v_add_f64 v[0:1], v[48:49], v[0:1]
	;; [unrolled: 1-line block ×3, first 2 shown]
	v_fma_f64 v[105:106], v[74:75], s[28:29], v[160:161]
	v_fma_f64 v[107:108], v[76:77], s[18:19], -v[164:165]
	v_add_f64 v[38:39], v[42:43], v[38:39]
	v_add_f64 v[42:43], v[132:133], v[78:79]
	v_fma_f64 v[44:45], v[76:77], s[4:5], -v[154:155]
	v_fma_f64 v[103:104], v[76:77], s[18:19], v[164:165]
	v_add_f64 v[46:47], v[97:98], v[46:47]
	v_fma_f64 v[140:141], v[76:77], s[14:15], v[150:151]
	v_fma_f64 v[144:145], v[76:77], s[14:15], -v[150:151]
	v_fma_f64 v[50:51], v[76:77], s[0:1], v[58:59]
	v_fma_f64 v[58:59], v[76:77], s[0:1], -v[58:59]
	;; [unrolled: 2-line block ×3, first 2 shown]
	v_fma_f64 v[32:33], v[74:75], s[34:35], v[152:153]
	v_add_f64 v[70:71], v[111:112], v[70:71]
	v_fma_f64 v[142:143], v[74:75], s[36:37], v[148:149]
	v_fma_f64 v[72:73], v[74:75], s[16:17], v[148:149]
	v_add_f64 v[10:11], v[10:11], v[26:27]
	v_add_f64 v[8:9], v[8:9], v[24:25]
	;; [unrolled: 1-line block ×3, first 2 shown]
	v_fma_f64 v[28:29], v[76:77], s[4:5], v[154:155]
	v_add_f64 v[56:57], v[62:63], v[56:57]
	v_add_f64 v[78:79], v[138:139], v[95:96]
	v_fma_f64 v[26:27], v[74:75], s[10:11], v[152:153]
	v_fma_f64 v[52:53], v[74:75], s[30:31], v[156:157]
	v_add_f64 v[40:41], v[126:127], v[40:41]
	v_add_f64 v[60:61], v[60:61], v[87:88]
	v_add_f64 v[76:77], v[136:137], v[93:94]
	v_add_f64 v[62:63], v[134:135], v[91:92]
	v_add_f64 v[87:88], v[117:118], v[99:100]
	v_add_f64 v[34:35], v[89:90], v[34:35]
	v_fma_f64 v[48:49], v[74:75], s[12:13], v[156:157]
	v_fma_f64 v[101:102], v[74:75], s[24:25], v[160:161]
	;; [unrolled: 1-line block ×4, first 2 shown]
	v_add_f64 v[74:75], v[166:167], v[14:15]
	v_add_f64 v[54:55], v[113:114], v[54:55]
	;; [unrolled: 1-line block ×22, first 2 shown]
	v_and_b32_e32 v44, 0xffff, v85
	v_lshlrev_b32_e32 v45, 4, v86
	v_add_f64 v[22:23], v[48:49], v[74:75]
	v_add_f64 v[20:21], v[50:51], v[54:55]
	;; [unrolled: 1-line block ×7, first 2 shown]
	v_mul_u32_u24_e32 v44, 0x8f0, v44
	s_delay_alu instid0(VALU_DEP_1)
	v_add3_u32 v44, 0, v44, v45
	v_add_f64 v[6:7], v[95:96], v[6:7]
	v_add_f64 v[4:5], v[97:98], v[4:5]
	;; [unrolled: 1-line block ×3, first 2 shown]
	ds_store_b128 v44, v[28:31] offset:416
	ds_store_b128 v44, v[24:27] offset:624
	;; [unrolled: 1-line block ×9, first 2 shown]
	ds_store_b128 v44, v[4:7]
	ds_store_b128 v44, v[36:39] offset:2080
.LBB0_25:
	s_or_b32 exec_lo, exec_lo, s33
	v_mul_u32_u24_e32 v0, 9, v84
	s_waitcnt lgkmcnt(0)
	s_barrier
	buffer_gl0_inv
	s_mov_b32 s4, 0x134454ff
	v_lshlrev_b32_e32 v32, 4, v0
	s_mov_b32 s5, 0x3fee6f0e
	s_mov_b32 s1, 0xbfee6f0e
	;; [unrolled: 1-line block ×4, first 2 shown]
	s_clause 0x8
	global_load_b128 v[0:3], v32, s[8:9] offset:2112
	global_load_b128 v[4:7], v32, s[8:9] offset:2144
	;; [unrolled: 1-line block ×9, first 2 shown]
	ds_load_b128 v[36:39], v125 offset:6864
	ds_load_b128 v[40:43], v125 offset:11440
	;; [unrolled: 1-line block ×6, first 2 shown]
	s_mov_b32 s11, 0x3fe2cf23
	s_mov_b32 s9, 0xbfe2cf23
	;; [unrolled: 1-line block ×7, first 2 shown]
	s_waitcnt vmcnt(8) lgkmcnt(5)
	v_mul_f64 v[60:61], v[38:39], v[2:3]
	v_mul_f64 v[2:3], v[36:37], v[2:3]
	s_waitcnt vmcnt(7) lgkmcnt(4)
	v_mul_f64 v[62:63], v[42:43], v[6:7]
	v_mul_f64 v[6:7], v[40:41], v[6:7]
	s_waitcnt vmcnt(6) lgkmcnt(3)
	v_mul_f64 v[64:65], v[44:45], v[10:11]
	s_waitcnt vmcnt(5) lgkmcnt(2)
	v_mul_f64 v[66:67], v[48:49], v[14:15]
	v_mul_f64 v[14:15], v[50:51], v[14:15]
	;; [unrolled: 1-line block ×3, first 2 shown]
	s_waitcnt vmcnt(4) lgkmcnt(1)
	v_mul_f64 v[68:69], v[54:55], v[18:19]
	v_mul_f64 v[18:19], v[52:53], v[18:19]
	v_fma_f64 v[36:37], v[36:37], v[0:1], -v[60:61]
	v_fma_f64 v[38:39], v[38:39], v[0:1], v[2:3]
	v_fma_f64 v[40:41], v[40:41], v[4:5], -v[62:63]
	v_fma_f64 v[42:43], v[42:43], v[4:5], v[6:7]
	v_fma_f64 v[46:47], v[46:47], v[8:9], v[64:65]
	;; [unrolled: 1-line block ×3, first 2 shown]
	v_fma_f64 v[12:13], v[48:49], v[12:13], -v[14:15]
	v_fma_f64 v[14:15], v[44:45], v[8:9], -v[10:11]
	ds_load_b128 v[0:3], v125 offset:9152
	ds_load_b128 v[4:7], v125 offset:13728
	;; [unrolled: 1-line block ×3, first 2 shown]
	s_waitcnt vmcnt(3) lgkmcnt(3)
	v_mul_f64 v[44:45], v[58:59], v[22:23]
	v_mul_f64 v[22:23], v[56:57], v[22:23]
	v_fma_f64 v[52:53], v[52:53], v[16:17], -v[68:69]
	v_fma_f64 v[16:17], v[54:55], v[16:17], v[18:19]
	s_waitcnt vmcnt(2) lgkmcnt(2)
	v_mul_f64 v[48:49], v[2:3], v[26:27]
	v_mul_f64 v[26:27], v[0:1], v[26:27]
	s_waitcnt vmcnt(1) lgkmcnt(1)
	v_mul_f64 v[60:61], v[6:7], v[30:31]
	s_waitcnt vmcnt(0) lgkmcnt(0)
	v_mul_f64 v[62:63], v[10:11], v[34:35]
	v_mul_f64 v[30:31], v[4:5], v[30:31]
	;; [unrolled: 1-line block ×3, first 2 shown]
	v_add_f64 v[68:69], v[40:41], -v[36:37]
	v_add_f64 v[72:73], v[38:39], -v[42:43]
	v_add_f64 v[18:19], v[42:43], v[46:47]
	v_add_f64 v[54:55], v[38:39], v[50:51]
	;; [unrolled: 1-line block ×4, first 2 shown]
	v_add_f64 v[70:71], v[14:15], -v[12:13]
	v_fma_f64 v[44:45], v[56:57], v[20:21], -v[44:45]
	v_fma_f64 v[20:21], v[58:59], v[20:21], v[22:23]
	v_add_f64 v[74:75], v[50:51], -v[46:47]
	v_add_f64 v[76:77], v[42:43], -v[38:39]
	v_add_f64 v[78:79], v[46:47], -v[50:51]
	v_fma_f64 v[22:23], v[0:1], v[24:25], -v[48:49]
	v_fma_f64 v[24:25], v[2:3], v[24:25], v[26:27]
	v_fma_f64 v[4:5], v[4:5], v[28:29], -v[60:61]
	v_fma_f64 v[8:9], v[8:9], v[32:33], -v[62:63]
	v_fma_f64 v[6:7], v[6:7], v[28:29], v[30:31]
	v_fma_f64 v[10:11], v[10:11], v[32:33], v[34:35]
	v_add_f64 v[26:27], v[38:39], -v[50:51]
	v_add_f64 v[30:31], v[36:37], -v[12:13]
	;; [unrolled: 1-line block ×4, first 2 shown]
	ds_load_b128 v[0:3], v125
	s_waitcnt lgkmcnt(0)
	s_barrier
	buffer_gl0_inv
	v_fma_f64 v[18:19], v[18:19], -0.5, v[16:17]
	v_fma_f64 v[34:35], v[54:55], -0.5, v[16:17]
	;; [unrolled: 1-line block ×4, first 2 shown]
	v_add_f64 v[64:65], v[36:37], -v[40:41]
	v_add_f64 v[66:67], v[12:13], -v[14:15]
	v_add_f64 v[36:37], v[52:53], v[36:37]
	v_add_f64 v[16:17], v[16:17], v[38:39]
	;; [unrolled: 1-line block ×8, first 2 shown]
	v_add_f64 v[95:96], v[20:21], -v[10:11]
	v_add_f64 v[101:102], v[44:45], -v[8:9]
	;; [unrolled: 1-line block ×4, first 2 shown]
	v_fma_f64 v[85:86], v[30:31], s[0:1], v[18:19]
	v_fma_f64 v[87:88], v[32:33], s[4:5], v[34:35]
	v_fma_f64 v[89:90], v[28:29], s[4:5], v[48:49]
	v_fma_f64 v[91:92], v[26:27], s[0:1], v[54:55]
	v_fma_f64 v[54:55], v[26:27], s[4:5], v[54:55]
	v_fma_f64 v[48:49], v[28:29], s[0:1], v[48:49]
	v_fma_f64 v[34:35], v[32:33], s[0:1], v[34:35]
	v_fma_f64 v[18:19], v[30:31], s[4:5], v[18:19]
	v_add_f64 v[36:37], v[36:37], v[40:41]
	v_add_f64 v[16:17], v[16:17], v[42:43]
	v_fma_f64 v[38:39], v[56:57], -0.5, v[0:1]
	v_fma_f64 v[0:1], v[58:59], -0.5, v[0:1]
	;; [unrolled: 1-line block ×3, first 2 shown]
	v_add_f64 v[56:57], v[64:65], v[66:67]
	v_add_f64 v[58:59], v[68:69], v[70:71]
	;; [unrolled: 1-line block ×3, first 2 shown]
	v_fma_f64 v[2:3], v[62:63], -0.5, v[2:3]
	v_add_f64 v[62:63], v[76:77], v[78:79]
	v_add_f64 v[72:73], v[10:11], -v[6:7]
	v_add_f64 v[74:75], v[6:7], -v[10:11]
	v_fma_f64 v[64:65], v[32:33], s[8:9], v[85:86]
	v_fma_f64 v[66:67], v[30:31], s[8:9], v[87:88]
	;; [unrolled: 1-line block ×8, first 2 shown]
	v_add_f64 v[32:33], v[44:45], -v[22:23]
	v_add_f64 v[44:45], v[22:23], -v[44:45]
	;; [unrolled: 1-line block ×4, first 2 shown]
	v_add_f64 v[22:23], v[93:94], v[22:23]
	v_add_f64 v[24:25], v[99:100], v[24:25]
	v_add_f64 v[34:35], v[8:9], -v[4:5]
	v_add_f64 v[48:49], v[4:5], -v[8:9]
	v_add_f64 v[14:15], v[36:37], v[14:15]
	v_add_f64 v[16:17], v[16:17], v[46:47]
	v_fma_f64 v[40:41], v[95:96], s[4:5], v[38:39]
	v_fma_f64 v[38:39], v[95:96], s[0:1], v[38:39]
	;; [unrolled: 1-line block ×16, first 2 shown]
	v_add_f64 v[20:21], v[20:21], v[74:75]
	v_add_f64 v[4:5], v[22:23], v[4:5]
	;; [unrolled: 1-line block ×6, first 2 shown]
	v_fma_f64 v[22:23], v[97:98], s[10:11], v[40:41]
	v_fma_f64 v[24:25], v[97:98], s[8:9], v[38:39]
	v_fma_f64 v[38:39], v[103:104], s[8:9], v[76:77]
	v_fma_f64 v[36:37], v[95:96], s[10:11], v[42:43]
	v_fma_f64 v[0:1], v[95:96], s[8:9], v[0:1]
	v_fma_f64 v[40:41], v[103:104], s[10:11], v[52:53]
	v_fma_f64 v[42:43], v[101:102], s[8:9], v[78:79]
	v_fma_f64 v[2:3], v[101:102], s[10:11], v[2:3]
	v_mul_f64 v[46:47], v[64:65], s[10:11]
	v_mul_f64 v[48:49], v[66:67], s[4:5]
	;; [unrolled: 1-line block ×8, first 2 shown]
	v_add_f64 v[4:5], v[4:5], v[8:9]
	v_add_f64 v[6:7], v[6:7], v[10:11]
	;; [unrolled: 1-line block ×4, first 2 shown]
	v_fma_f64 v[50:51], v[32:33], s[12:13], v[22:23]
	v_fma_f64 v[72:73], v[32:33], s[12:13], v[24:25]
	;; [unrolled: 1-line block ×10, first 2 shown]
	v_fma_f64 v[30:31], v[30:31], s[4:5], -v[52:53]
	v_fma_f64 v[36:37], v[18:19], s[10:11], -v[54:55]
	v_fma_f64 v[46:47], v[64:65], s[14:15], v[56:57]
	v_fma_f64 v[48:49], v[66:67], s[12:13], v[58:59]
	v_fma_f64 v[52:53], v[68:69], s[0:1], -v[60:61]
	v_fma_f64 v[54:55], v[70:71], s[8:9], -v[62:63]
	v_add_f64 v[0:1], v[4:5], v[8:9]
	v_add_f64 v[2:3], v[6:7], v[10:11]
	v_add_f64 v[4:5], v[4:5], -v[8:9]
	v_add_f64 v[6:7], v[6:7], -v[10:11]
	v_add_f64 v[8:9], v[50:51], v[24:25]
	v_add_f64 v[12:13], v[32:33], v[26:27]
	;; [unrolled: 1-line block ×8, first 2 shown]
	v_add_f64 v[24:25], v[50:51], -v[24:25]
	v_add_f64 v[28:29], v[32:33], -v[26:27]
	;; [unrolled: 1-line block ×8, first 2 shown]
	ds_store_b128 v125, v[0:3]
	ds_store_b128 v125, v[8:11] offset:2288
	ds_store_b128 v125, v[12:15] offset:4576
	;; [unrolled: 1-line block ×9, first 2 shown]
	s_waitcnt lgkmcnt(0)
	s_barrier
	buffer_gl0_inv
	s_and_saveexec_b32 s0, vcc_lo
	s_cbranch_execz .LBB0_27
; %bb.26:
	v_mul_lo_u32 v2, s3, v82
	v_mul_lo_u32 v3, s2, v83
	v_mad_u64_u32 v[0:1], null, s2, v82, 0
	v_dual_mov_b32 v85, 0 :: v_dual_add_nc_u32 v10, 0x8f, v84
	v_lshlrev_b64 v[8:9], 4, v[80:81]
	v_lshl_add_u32 v34, v84, 4, 0
	s_delay_alu instid0(VALU_DEP_3) | instskip(SKIP_4) | instid1(VALU_DEP_4)
	v_dual_mov_b32 v11, v85 :: v_dual_add_nc_u32 v12, 0x11e, v84
	v_add3_u32 v1, v1, v3, v2
	v_lshlrev_b64 v[14:15], 4, v[84:85]
	v_dual_mov_b32 v13, v85 :: v_dual_add_nc_u32 v22, 0x1ad, v84
	v_dual_mov_b32 v23, v85 :: v_dual_add_nc_u32 v24, 0x23c, v84
	v_lshlrev_b64 v[16:17], 4, v[0:1]
	ds_load_b128 v[0:3], v34
	ds_load_b128 v[4:7], v34 offset:2288
	v_mov_b32_e32 v25, v85
	v_lshlrev_b64 v[22:23], 4, v[22:23]
	v_add_co_u32 v18, vcc_lo, s6, v16
	v_add_co_ci_u32_e32 v19, vcc_lo, s7, v17, vcc_lo
	v_lshlrev_b64 v[16:17], 4, v[10:11]
	s_delay_alu instid0(VALU_DEP_3) | instskip(NEXT) | instid1(VALU_DEP_3)
	v_add_co_u32 v36, vcc_lo, v18, v8
	v_add_co_ci_u32_e32 v37, vcc_lo, v19, v9, vcc_lo
	v_lshlrev_b64 v[18:19], 4, v[12:13]
	s_delay_alu instid0(VALU_DEP_3) | instskip(NEXT) | instid1(VALU_DEP_3)
	v_add_co_u32 v20, vcc_lo, v36, v14
	v_add_co_ci_u32_e32 v21, vcc_lo, v37, v15, vcc_lo
	ds_load_b128 v[8:11], v34 offset:4576
	ds_load_b128 v[12:15], v34 offset:6864
	v_add_co_u32 v16, vcc_lo, v36, v16
	v_add_co_ci_u32_e32 v17, vcc_lo, v37, v17, vcc_lo
	v_add_co_u32 v18, vcc_lo, v36, v18
	v_add_co_ci_u32_e32 v19, vcc_lo, v37, v19, vcc_lo
	v_add_co_u32 v22, vcc_lo, v36, v22
	s_waitcnt lgkmcnt(3)
	global_store_b128 v[20:21], v[0:3], off
	s_waitcnt lgkmcnt(2)
	global_store_b128 v[16:17], v[4:7], off
	v_dual_mov_b32 v3, v85 :: v_dual_add_nc_u32 v2, 0x2cb, v84
	v_add_co_ci_u32_e32 v23, vcc_lo, v37, v23, vcc_lo
	v_lshlrev_b64 v[0:1], 4, v[24:25]
	s_waitcnt lgkmcnt(1)
	global_store_b128 v[18:19], v[8:11], off
	s_waitcnt lgkmcnt(0)
	global_store_b128 v[22:23], v[12:15], off
	v_add_nc_u32_e32 v10, 0x35a, v84
	v_lshlrev_b64 v[8:9], 4, v[2:3]
	v_add_co_u32 v24, vcc_lo, v36, v0
	v_dual_mov_b32 v11, v85 :: v_dual_add_nc_u32 v16, 0x3e9, v84
	v_add_co_ci_u32_e32 v25, vcc_lo, v37, v1, vcc_lo
	s_delay_alu instid0(VALU_DEP_4) | instskip(SKIP_1) | instid1(VALU_DEP_4)
	v_add_co_u32 v26, vcc_lo, v36, v8
	v_add_co_ci_u32_e32 v27, vcc_lo, v37, v9, vcc_lo
	v_lshlrev_b64 v[8:9], 4, v[10:11]
	v_dual_mov_b32 v17, v85 :: v_dual_add_nc_u32 v18, 0x478, v84
	v_dual_mov_b32 v19, v85 :: v_dual_add_nc_u32 v84, 0x507, v84
	ds_load_b128 v[0:3], v34 offset:9152
	ds_load_b128 v[4:7], v34 offset:11440
	v_add_co_u32 v28, vcc_lo, v36, v8
	v_add_co_ci_u32_e32 v29, vcc_lo, v37, v9, vcc_lo
	ds_load_b128 v[8:11], v34 offset:13728
	ds_load_b128 v[12:15], v34 offset:16016
	v_lshlrev_b64 v[30:31], 4, v[16:17]
	v_lshlrev_b64 v[32:33], 4, v[18:19]
	ds_load_b128 v[16:19], v34 offset:18304
	ds_load_b128 v[20:23], v34 offset:20592
	v_lshlrev_b64 v[34:35], 4, v[84:85]
	v_add_co_u32 v30, vcc_lo, v36, v30
	v_add_co_ci_u32_e32 v31, vcc_lo, v37, v31, vcc_lo
	v_add_co_u32 v32, vcc_lo, v36, v32
	v_add_co_ci_u32_e32 v33, vcc_lo, v37, v33, vcc_lo
	;; [unrolled: 2-line block ×3, first 2 shown]
	s_waitcnt lgkmcnt(5)
	global_store_b128 v[24:25], v[0:3], off
	s_waitcnt lgkmcnt(4)
	global_store_b128 v[26:27], v[4:7], off
	;; [unrolled: 2-line block ×6, first 2 shown]
.LBB0_27:
	s_nop 0
	s_sendmsg sendmsg(MSG_DEALLOC_VGPRS)
	s_endpgm
	.section	.rodata,"a",@progbits
	.p2align	6, 0x0
	.amdhsa_kernel fft_rtc_fwd_len1430_factors_13_11_10_wgs_143_tpt_143_dp_op_CI_CI_unitstride_sbrr_C2R_dirReg
		.amdhsa_group_segment_fixed_size 0
		.amdhsa_private_segment_fixed_size 0
		.amdhsa_kernarg_size 104
		.amdhsa_user_sgpr_count 15
		.amdhsa_user_sgpr_dispatch_ptr 0
		.amdhsa_user_sgpr_queue_ptr 0
		.amdhsa_user_sgpr_kernarg_segment_ptr 1
		.amdhsa_user_sgpr_dispatch_id 0
		.amdhsa_user_sgpr_private_segment_size 0
		.amdhsa_wavefront_size32 1
		.amdhsa_uses_dynamic_stack 0
		.amdhsa_enable_private_segment 0
		.amdhsa_system_sgpr_workgroup_id_x 1
		.amdhsa_system_sgpr_workgroup_id_y 0
		.amdhsa_system_sgpr_workgroup_id_z 0
		.amdhsa_system_sgpr_workgroup_info 0
		.amdhsa_system_vgpr_workitem_id 0
		.amdhsa_next_free_vgpr 196
		.amdhsa_next_free_sgpr 44
		.amdhsa_reserve_vcc 1
		.amdhsa_float_round_mode_32 0
		.amdhsa_float_round_mode_16_64 0
		.amdhsa_float_denorm_mode_32 3
		.amdhsa_float_denorm_mode_16_64 3
		.amdhsa_dx10_clamp 1
		.amdhsa_ieee_mode 1
		.amdhsa_fp16_overflow 0
		.amdhsa_workgroup_processor_mode 1
		.amdhsa_memory_ordered 1
		.amdhsa_forward_progress 0
		.amdhsa_shared_vgpr_count 0
		.amdhsa_exception_fp_ieee_invalid_op 0
		.amdhsa_exception_fp_denorm_src 0
		.amdhsa_exception_fp_ieee_div_zero 0
		.amdhsa_exception_fp_ieee_overflow 0
		.amdhsa_exception_fp_ieee_underflow 0
		.amdhsa_exception_fp_ieee_inexact 0
		.amdhsa_exception_int_div_zero 0
	.end_amdhsa_kernel
	.text
.Lfunc_end0:
	.size	fft_rtc_fwd_len1430_factors_13_11_10_wgs_143_tpt_143_dp_op_CI_CI_unitstride_sbrr_C2R_dirReg, .Lfunc_end0-fft_rtc_fwd_len1430_factors_13_11_10_wgs_143_tpt_143_dp_op_CI_CI_unitstride_sbrr_C2R_dirReg
                                        ; -- End function
	.section	.AMDGPU.csdata,"",@progbits
; Kernel info:
; codeLenInByte = 12884
; NumSgprs: 46
; NumVgprs: 196
; ScratchSize: 0
; MemoryBound: 0
; FloatMode: 240
; IeeeMode: 1
; LDSByteSize: 0 bytes/workgroup (compile time only)
; SGPRBlocks: 5
; VGPRBlocks: 24
; NumSGPRsForWavesPerEU: 46
; NumVGPRsForWavesPerEU: 196
; Occupancy: 7
; WaveLimiterHint : 1
; COMPUTE_PGM_RSRC2:SCRATCH_EN: 0
; COMPUTE_PGM_RSRC2:USER_SGPR: 15
; COMPUTE_PGM_RSRC2:TRAP_HANDLER: 0
; COMPUTE_PGM_RSRC2:TGID_X_EN: 1
; COMPUTE_PGM_RSRC2:TGID_Y_EN: 0
; COMPUTE_PGM_RSRC2:TGID_Z_EN: 0
; COMPUTE_PGM_RSRC2:TIDIG_COMP_CNT: 0
	.text
	.p2alignl 7, 3214868480
	.fill 96, 4, 3214868480
	.type	__hip_cuid_f73b50238decd428,@object ; @__hip_cuid_f73b50238decd428
	.section	.bss,"aw",@nobits
	.globl	__hip_cuid_f73b50238decd428
__hip_cuid_f73b50238decd428:
	.byte	0                               ; 0x0
	.size	__hip_cuid_f73b50238decd428, 1

	.ident	"AMD clang version 19.0.0git (https://github.com/RadeonOpenCompute/llvm-project roc-6.4.0 25133 c7fe45cf4b819c5991fe208aaa96edf142730f1d)"
	.section	".note.GNU-stack","",@progbits
	.addrsig
	.addrsig_sym __hip_cuid_f73b50238decd428
	.amdgpu_metadata
---
amdhsa.kernels:
  - .args:
      - .actual_access:  read_only
        .address_space:  global
        .offset:         0
        .size:           8
        .value_kind:     global_buffer
      - .offset:         8
        .size:           8
        .value_kind:     by_value
      - .actual_access:  read_only
        .address_space:  global
        .offset:         16
        .size:           8
        .value_kind:     global_buffer
      - .actual_access:  read_only
        .address_space:  global
        .offset:         24
        .size:           8
        .value_kind:     global_buffer
      - .actual_access:  read_only
        .address_space:  global
        .offset:         32
        .size:           8
        .value_kind:     global_buffer
      - .offset:         40
        .size:           8
        .value_kind:     by_value
      - .actual_access:  read_only
        .address_space:  global
        .offset:         48
        .size:           8
        .value_kind:     global_buffer
      - .actual_access:  read_only
        .address_space:  global
        .offset:         56
        .size:           8
        .value_kind:     global_buffer
      - .offset:         64
        .size:           4
        .value_kind:     by_value
      - .actual_access:  read_only
        .address_space:  global
        .offset:         72
        .size:           8
        .value_kind:     global_buffer
      - .actual_access:  read_only
        .address_space:  global
        .offset:         80
        .size:           8
        .value_kind:     global_buffer
      - .actual_access:  read_only
        .address_space:  global
        .offset:         88
        .size:           8
        .value_kind:     global_buffer
      - .actual_access:  write_only
        .address_space:  global
        .offset:         96
        .size:           8
        .value_kind:     global_buffer
    .group_segment_fixed_size: 0
    .kernarg_segment_align: 8
    .kernarg_segment_size: 104
    .language:       OpenCL C
    .language_version:
      - 2
      - 0
    .max_flat_workgroup_size: 143
    .name:           fft_rtc_fwd_len1430_factors_13_11_10_wgs_143_tpt_143_dp_op_CI_CI_unitstride_sbrr_C2R_dirReg
    .private_segment_fixed_size: 0
    .sgpr_count:     46
    .sgpr_spill_count: 0
    .symbol:         fft_rtc_fwd_len1430_factors_13_11_10_wgs_143_tpt_143_dp_op_CI_CI_unitstride_sbrr_C2R_dirReg.kd
    .uniform_work_group_size: 1
    .uses_dynamic_stack: false
    .vgpr_count:     196
    .vgpr_spill_count: 0
    .wavefront_size: 32
    .workgroup_processor_mode: 1
amdhsa.target:   amdgcn-amd-amdhsa--gfx1100
amdhsa.version:
  - 1
  - 2
...

	.end_amdgpu_metadata
